;; amdgpu-corpus repo=ROCm/rocFFT kind=compiled arch=gfx1030 opt=O3
	.text
	.amdgcn_target "amdgcn-amd-amdhsa--gfx1030"
	.amdhsa_code_object_version 6
	.protected	fft_rtc_back_len289_factors_17_17_wgs_119_tpt_17_half_op_CI_CI_sbrc_aligned_dirReg ; -- Begin function fft_rtc_back_len289_factors_17_17_wgs_119_tpt_17_half_op_CI_CI_sbrc_aligned_dirReg
	.globl	fft_rtc_back_len289_factors_17_17_wgs_119_tpt_17_half_op_CI_CI_sbrc_aligned_dirReg
	.p2align	8
	.type	fft_rtc_back_len289_factors_17_17_wgs_119_tpt_17_half_op_CI_CI_sbrc_aligned_dirReg,@function
fft_rtc_back_len289_factors_17_17_wgs_119_tpt_17_half_op_CI_CI_sbrc_aligned_dirReg: ; @fft_rtc_back_len289_factors_17_17_wgs_119_tpt_17_half_op_CI_CI_sbrc_aligned_dirReg
; %bb.0:
	s_clause 0x1
	s_load_dwordx8 s[8:15], s[4:5], 0x0
	s_load_dwordx2 s[24:25], s[4:5], 0x20
	s_mov_b32 s28, 0
	s_mov_b64 s[34:35], 2
	s_waitcnt lgkmcnt(0)
	s_load_dword s0, s[12:13], 0x8
	s_load_dwordx4 s[20:23], s[14:15], 0x0
	s_waitcnt lgkmcnt(0)
	s_add_i32 s0, s0, -1
	s_mul_hi_u32 s1, s0, 0x24924925
	s_sub_i32 s0, s0, s1
	s_lshr_b32 s0, s0, 1
	s_add_i32 s0, s0, s1
	s_lshr_b32 s0, s0, 2
	s_add_i32 s7, s0, 1
	v_cvt_f32_u32_e32 v1, s7
	s_sub_i32 s1, 0, s7
	v_rcp_iflag_f32_e32 v1, v1
	v_mul_f32_e32 v1, 0x4f7ffffe, v1
	v_cvt_u32_f32_e32 v1, v1
	v_readfirstlane_b32 s0, v1
	s_mul_i32 s1, s1, s0
	s_mul_hi_u32 s1, s0, s1
	s_add_i32 s0, s0, s1
	s_mul_hi_u32 s26, s6, s0
	s_load_dwordx4 s[0:3], s[24:25], 0x0
	s_mul_i32 s16, s26, s7
	s_add_i32 s23, s26, 1
	s_waitcnt lgkmcnt(0)
	s_sub_i32 s3, s6, s16
	s_load_dwordx4 s[16:19], s[4:5], 0x58
	s_sub_i32 s27, s3, s7
	s_cmp_ge_u32 s3, s7
	s_cselect_b32 s4, s23, s26
	s_cselect_b32 s3, s27, s3
	s_add_i32 s5, s4, 1
	s_cmp_ge_u32 s3, s7
	s_mov_b32 s27, s28
	s_cselect_b32 s3, s5, s4
	v_cmp_gt_u64_e64 s4, s[10:11], 2
	s_mul_i32 s5, s3, s7
	s_sub_i32 s5, s6, s5
	s_mul_i32 s5, s5, 7
	s_and_b32 vcc_lo, exec_lo, s4
	s_mul_i32 s23, s1, s5
	s_mul_hi_u32 s29, s0, s5
	s_mul_i32 s26, s5, s22
	s_mul_i32 s4, s0, s5
	s_add_i32 s5, s29, s23
	s_cbranch_vccz .LBB0_9
; %bb.1:
	s_mov_b32 s30, 3
.LBB0_2:                                ; =>This Inner Loop Header: Depth=1
	s_lshl_b64 s[36:37], s[34:35], 3
	s_add_u32 s34, s12, s36
	s_addc_u32 s35, s13, s37
	s_load_dwordx2 s[34:35], s[34:35], 0x0
	s_waitcnt lgkmcnt(0)
	s_mov_b32 s29, s35
	s_cmp_lg_u64 s[28:29], 0
	s_cbranch_scc0 .LBB0_7
; %bb.3:                                ;   in Loop: Header=BB0_2 Depth=1
	v_cvt_f32_u32_e32 v1, s34
	v_cvt_f32_u32_e32 v2, s35
	s_sub_u32 s31, 0, s34
	s_subb_u32 s33, 0, s35
	v_fmac_f32_e32 v1, 0x4f800000, v2
	v_rcp_f32_e32 v1, v1
	v_mul_f32_e32 v1, 0x5f7ffffc, v1
	v_mul_f32_e32 v2, 0x2f800000, v1
	v_trunc_f32_e32 v2, v2
	v_fmac_f32_e32 v1, 0xcf800000, v2
	v_cvt_u32_f32_e32 v2, v2
	v_cvt_u32_f32_e32 v1, v1
	v_readfirstlane_b32 s23, v2
	v_readfirstlane_b32 s29, v1
	s_mul_i32 s38, s31, s23
	s_mul_hi_u32 s40, s31, s29
	s_mul_i32 s39, s33, s29
	s_add_i32 s38, s40, s38
	s_mul_i32 s41, s31, s29
	s_add_i32 s38, s38, s39
	s_mul_hi_u32 s40, s29, s41
	s_mul_hi_u32 s42, s23, s41
	s_mul_i32 s39, s23, s41
	s_mul_hi_u32 s41, s29, s38
	s_mul_i32 s29, s29, s38
	s_mul_hi_u32 s43, s23, s38
	s_add_u32 s29, s40, s29
	s_addc_u32 s40, 0, s41
	s_add_u32 s29, s29, s39
	s_mul_i32 s38, s23, s38
	s_addc_u32 s29, s40, s42
	s_addc_u32 s39, s43, 0
	s_add_u32 s29, s29, s38
	s_addc_u32 s38, 0, s39
	v_add_co_u32 v1, s29, v1, s29
	s_cmp_lg_u32 s29, 0
	s_addc_u32 s23, s23, s38
	v_readfirstlane_b32 s29, v1
	s_mul_i32 s38, s31, s23
	s_mul_hi_u32 s39, s31, s29
	s_mul_i32 s33, s33, s29
	s_add_i32 s38, s39, s38
	s_mul_i32 s31, s31, s29
	s_add_i32 s38, s38, s33
	s_mul_hi_u32 s39, s23, s31
	s_mul_i32 s40, s23, s31
	s_mul_hi_u32 s31, s29, s31
	s_mul_hi_u32 s41, s29, s38
	s_mul_i32 s29, s29, s38
	s_mul_hi_u32 s33, s23, s38
	s_add_u32 s29, s31, s29
	s_addc_u32 s31, 0, s41
	s_add_u32 s29, s29, s40
	s_mul_i32 s38, s23, s38
	s_addc_u32 s29, s31, s39
	s_addc_u32 s31, s33, 0
	s_add_u32 s29, s29, s38
	s_addc_u32 s31, 0, s31
	v_add_co_u32 v1, s29, v1, s29
	s_cmp_lg_u32 s29, 0
	s_addc_u32 s23, s23, s31
	v_readfirstlane_b32 s29, v1
	s_mul_i32 s31, s3, s23
	s_mul_hi_u32 s23, s3, s23
	s_mul_hi_u32 s29, s3, s29
	s_add_u32 s29, s29, s31
	s_addc_u32 s29, 0, s23
	s_mul_i32 s23, s35, s29
	s_mul_hi_u32 s31, s34, s29
	s_mul_i32 s33, s34, s29
	s_add_i32 s31, s31, s23
	v_sub_co_u32 v1, s23, s3, s33
	s_sub_i32 s33, 0, s31
	s_cmp_lg_u32 s23, 0
	v_sub_co_u32 v2, s38, v1, s34
	s_subb_u32 s33, s33, s35
	s_cmp_lg_u32 s38, 0
	v_readfirstlane_b32 s38, v2
	s_subb_u32 s33, s33, 0
	s_cmp_ge_u32 s33, s35
	s_cselect_b32 s39, -1, 0
	s_cmp_ge_u32 s38, s34
	s_cselect_b32 s38, -1, 0
	s_cmp_eq_u32 s33, s35
	s_cselect_b32 s33, s38, s39
	s_add_u32 s38, s29, 1
	s_addc_u32 s39, 0, 0
	s_add_u32 s40, s29, 2
	s_addc_u32 s41, 0, 0
	s_cmp_lg_u32 s33, 0
	s_cselect_b32 s33, s40, s38
	s_cselect_b32 s38, s41, s39
	s_cmp_lg_u32 s23, 0
	v_readfirstlane_b32 s23, v1
	s_subb_u32 s31, 0, s31
	s_cmp_ge_u32 s31, s35
	s_cselect_b32 s39, -1, 0
	s_cmp_ge_u32 s23, s34
	s_cselect_b32 s23, -1, 0
	s_cmp_eq_u32 s31, s35
	s_cselect_b32 s23, s23, s39
	s_cmp_lg_u32 s23, 0
	s_cselect_b32 s39, s38, 0
	s_cselect_b32 s38, s33, s29
	s_cbranch_execnz .LBB0_5
.LBB0_4:                                ;   in Loop: Header=BB0_2 Depth=1
	v_cvt_f32_u32_e32 v1, s34
	s_sub_i32 s29, 0, s34
	s_mov_b32 s39, s28
	v_rcp_iflag_f32_e32 v1, v1
	v_mul_f32_e32 v1, 0x4f7ffffe, v1
	v_cvt_u32_f32_e32 v1, v1
	v_readfirstlane_b32 s23, v1
	s_mul_i32 s29, s29, s23
	s_mul_hi_u32 s29, s23, s29
	s_add_i32 s23, s23, s29
	s_mul_hi_u32 s23, s3, s23
	s_mul_i32 s29, s23, s34
	s_add_i32 s31, s23, 1
	s_sub_i32 s29, s3, s29
	s_sub_i32 s33, s29, s34
	s_cmp_ge_u32 s29, s34
	s_cselect_b32 s23, s31, s23
	s_cselect_b32 s29, s33, s29
	s_add_i32 s31, s23, 1
	s_cmp_ge_u32 s29, s34
	s_cselect_b32 s38, s31, s23
.LBB0_5:                                ;   in Loop: Header=BB0_2 Depth=1
	s_mul_i32 s23, s38, s35
	s_mul_hi_u32 s29, s38, s34
	s_mul_i32 s31, s38, s34
	s_add_i32 s23, s29, s23
	s_mul_i32 s29, s39, s34
	s_mul_i32 s7, s7, s34
	s_add_i32 s23, s23, s29
	s_sub_u32 s3, s3, s31
	s_subb_u32 s23, 0, s23
	s_add_u32 s40, s14, s36
	s_addc_u32 s41, s15, s37
	s_load_dwordx2 s[40:41], s[40:41], 0x0
	s_waitcnt lgkmcnt(0)
	s_mul_i32 s29, s40, s23
	s_mul_hi_u32 s31, s40, s3
	s_mul_i32 s33, s41, s3
	s_add_i32 s29, s31, s29
	s_mul_i32 s31, s40, s3
	s_add_i32 s29, s29, s33
	s_add_u32 s26, s31, s26
	s_addc_u32 s27, s29, s27
	s_add_u32 s36, s24, s36
	s_addc_u32 s37, s25, s37
	s_mov_b32 s31, s28
	s_load_dwordx2 s[36:37], s[36:37], 0x0
	s_mov_b64 s[34:35], s[30:31]
	v_cmp_ge_u64_e64 s29, s[30:31], s[10:11]
	s_waitcnt lgkmcnt(0)
	s_mul_i32 s23, s36, s23
	s_mul_hi_u32 s31, s36, s3
	s_mul_i32 s33, s37, s3
	s_add_i32 s23, s31, s23
	s_mul_i32 s3, s36, s3
	s_add_i32 s23, s23, s33
	s_add_u32 s4, s3, s4
	s_addc_u32 s5, s23, s5
	s_and_b32 vcc_lo, exec_lo, s29
	s_add_i32 s30, s30, 1
	s_cbranch_vccnz .LBB0_8
; %bb.6:                                ;   in Loop: Header=BB0_2 Depth=1
	s_mov_b32 s3, s38
	s_branch .LBB0_2
.LBB0_7:                                ;   in Loop: Header=BB0_2 Depth=1
                                        ; implicit-def: $sgpr38_sgpr39
	s_branch .LBB0_4
.LBB0_8:
	v_cvt_f32_u32_e32 v1, s7
	s_sub_i32 s12, 0, s7
	v_rcp_iflag_f32_e32 v1, v1
	v_mul_f32_e32 v1, 0x4f7ffffe, v1
	v_cvt_u32_f32_e32 v1, v1
	v_readfirstlane_b32 s3, v1
	s_mul_i32 s12, s12, s3
	s_mul_hi_u32 s12, s3, s12
	s_add_i32 s3, s3, s12
	s_mul_hi_u32 s3, s6, s3
	s_mul_i32 s12, s3, s7
	s_sub_i32 s6, s6, s12
	s_add_i32 s12, s3, 1
	s_sub_i32 s13, s6, s7
	s_cmp_ge_u32 s6, s7
	s_cselect_b32 s3, s12, s3
	s_cselect_b32 s6, s13, s6
	s_add_i32 s12, s3, 1
	s_cmp_ge_u32 s6, s7
	s_cselect_b32 s3, s12, s3
.LBB0_9:
	v_add_nc_u16 v1, v0, 0xee
	v_mov_b32_e32 v18, 0xe3
	s_lshl_b64 s[6:7], s[10:11], 3
	v_add_nc_u16 v2, v0, 0x165
	s_add_u32 s10, s14, s6
	s_addc_u32 s11, s15, s7
	v_mul_u32_u24_sdwa v3, v1, v18 dst_sel:DWORD dst_unused:UNUSED_PAD src0_sel:WORD_0 src1_sel:DWORD
	s_load_dwordx2 s[10:11], s[10:11], 0x0
	v_mul_u32_u24_sdwa v4, v2, v18 dst_sel:DWORD dst_unused:UNUSED_PAD src0_sel:WORD_0 src1_sel:DWORD
	v_add_nc_u16 v5, v0, 0x1dc
	v_add_nc_u16 v19, v0, 0x253
	v_lshrrev_b32_e32 v11, 16, v3
	v_add_nc_u16 v24, v0, 0x2ca
	v_lshrrev_b32_e32 v12, 16, v4
	v_mul_u32_u24_sdwa v3, v5, v18 dst_sel:DWORD dst_unused:UNUSED_PAD src0_sel:WORD_0 src1_sel:DWORD
	v_mul_u32_u24_sdwa v6, v19, v18 dst_sel:DWORD dst_unused:UNUSED_PAD src0_sel:WORD_0 src1_sel:DWORD
	v_mul_lo_u16 v4, 0x121, v11
	v_add_nc_u16 v29, v0, 0x341
	v_add_nc_u16 v37, v0, 0x42f
	v_lshrrev_b32_e32 v13, 16, v3
	v_mul_lo_u16 v3, 0x121, v12
	v_sub_nc_u16 v14, v1, v4
	v_mul_lo_u32 v1, s22, v11
	v_lshrrev_b32_e32 v16, 16, v6
	v_mul_lo_u16 v7, 0x121, v13
	v_sub_nc_u16 v15, v2, v3
	v_and_b32_e32 v9, 0xffff, v14
	s_waitcnt lgkmcnt(0)
	s_mul_i32 s11, s11, s3
	s_mul_hi_u32 s12, s10, s3
	v_mov_b32_e32 v2, 0
	s_add_i32 s11, s12, s11
	v_mad_u64_u32 v[3:4], null, s20, v9, 0
	s_add_u32 s6, s24, s6
	s_addc_u32 s7, s25, s7
	v_sub_nc_u16 v17, v5, v7
	s_load_dwordx2 s[6:7], s[6:7], 0x0
	v_lshlrev_b64 v[5:6], 2, v[1:2]
	v_and_b32_e32 v20, 0xffff, v15
	v_mov_b32_e32 v1, v4
	v_and_b32_e32 v23, 0xffff, v17
	s_mul_i32 s10, s10, s3
	v_add_nc_u16 v42, v0, 0x4a6
	v_mad_u64_u32 v[7:8], null, s20, v20, 0
	v_mad_u64_u32 v[9:10], null, s21, v9, v[1:2]
	s_lshl_b64 s[10:11], s[10:11], 2
	v_mad_u64_u32 v[21:22], null, s20, v23, 0
	v_mul_lo_u32 v1, s22, v12
	v_mul_lo_u16 v10, 0x121, v16
	v_add_nc_u16 v44, v0, 0x51d
	v_mov_b32_e32 v4, v9
	v_mad_u64_u32 v[8:9], null, s21, v20, v[8:9]
	s_waitcnt lgkmcnt(0)
	s_mul_i32 s7, s7, s3
	s_mul_hi_u32 s12, s6, s3
	v_lshlrev_b64 v[3:4], 2, v[3:4]
	s_add_i32 s7, s12, s7
	s_add_u32 s12, s16, s10
	s_addc_u32 s13, s17, s11
	s_lshl_b64 s[10:11], s[26:27], 2
	v_mov_b32_e32 v9, v22
	s_add_u32 s10, s12, s10
	s_addc_u32 s11, s13, s11
	v_add_co_u32 v3, vcc_lo, s10, v3
	v_add_co_ci_u32_e32 v4, vcc_lo, s11, v4, vcc_lo
	v_sub_nc_u16 v19, v19, v10
	v_add_co_u32 v3, vcc_lo, v3, v5
	v_add_co_ci_u32_e32 v4, vcc_lo, v4, v6, vcc_lo
	v_lshlrev_b64 v[5:6], 2, v[7:8]
	v_mad_u64_u32 v[7:8], null, s21, v23, v[9:10]
	v_lshlrev_b64 v[8:9], 2, v[1:2]
	v_mul_u32_u24_sdwa v1, v24, v18 dst_sel:DWORD dst_unused:UNUSED_PAD src0_sel:WORD_0 src1_sel:DWORD
	v_and_b32_e32 v25, 0xffff, v19
	v_add_co_u32 v5, vcc_lo, s10, v5
	v_add_co_ci_u32_e32 v6, vcc_lo, s11, v6, vcc_lo
	v_lshrrev_b32_e32 v20, 16, v1
	v_mov_b32_e32 v22, v7
	v_add_co_u32 v5, vcc_lo, v5, v8
	v_add_co_ci_u32_e32 v6, vcc_lo, v6, v9, vcc_lo
	v_mul_lo_u16 v23, 0x121, v20
	v_lshlrev_b64 v[7:8], 2, v[21:22]
	v_mad_u64_u32 v[9:10], null, s20, v25, 0
	v_mul_lo_u32 v1, s22, v13
	v_sub_nc_u16 v21, v24, v23
	v_add_nc_u16 v45, v0, 0x594
	v_add_co_u32 v28, vcc_lo, s10, v7
	v_add_co_ci_u32_e32 v8, vcc_lo, s11, v8, vcc_lo
	v_mov_b32_e32 v7, v10
	v_and_b32_e32 v30, 0xffff, v21
	v_lshlrev_b64 v[23:24], 2, v[1:2]
	v_mul_u32_u24_sdwa v1, v29, v18 dst_sel:DWORD dst_unused:UNUSED_PAD src0_sel:WORD_0 src1_sel:DWORD
	v_mov_b32_e32 v18, 0x717
	v_mad_u64_u32 v[25:26], null, s21, v25, v[7:8]
	v_mad_u64_u32 v[26:27], null, s20, v30, 0
	v_lshrrev_b32_e32 v22, 16, v1
	v_add_co_u32 v7, vcc_lo, v28, v23
	v_add_co_ci_u32_e32 v8, vcc_lo, v8, v24, vcc_lo
	v_mov_b32_e32 v10, v25
	v_mov_b32_e32 v23, v27
	v_mul_lo_u16 v24, 0x121, v22
	v_add_nc_u16 v25, v0, 0x3b8
	v_mul_lo_u32 v1, s22, v16
	v_lshlrev_b64 v[9:10], 2, v[9:10]
	v_mul_u32_u24_sdwa v35, v37, v18 dst_sel:DWORD dst_unused:UNUSED_PAD src0_sel:WORD_0 src1_sel:DWORD
	v_mad_u64_u32 v[27:28], null, s21, v30, v[23:24]
	v_sub_nc_u16 v23, v29, v24
	v_mul_u32_u24_sdwa v24, v25, v18 dst_sel:DWORD dst_unused:UNUSED_PAD src0_sel:WORD_0 src1_sel:DWORD
	v_add_co_u32 v30, vcc_lo, s10, v9
	v_add_co_ci_u32_e32 v31, vcc_lo, s11, v10, vcc_lo
	v_lshrrev_b32_e32 v24, 19, v24
	v_and_b32_e32 v34, 0xffff, v23
	v_lshlrev_b64 v[9:10], 2, v[1:2]
	v_mul_lo_u32 v1, s22, v20
	v_mul_u32_u24_sdwa v40, v42, v18 dst_sel:DWORD dst_unused:UNUSED_PAD src0_sel:WORD_0 src1_sel:DWORD
	v_mul_lo_u16 v32, 0x121, v24
	v_mad_u64_u32 v[28:29], null, s20, v34, 0
	v_add_co_u32 v9, vcc_lo, v30, v9
	v_sub_nc_u16 v25, v25, v32
	v_add_co_ci_u32_e32 v10, vcc_lo, v31, v10, vcc_lo
	v_lshlrev_b64 v[30:31], 2, v[26:27]
	v_mov_b32_e32 v27, v29
	v_lshrrev_b32_e32 v26, 19, v35
	v_and_b32_e32 v38, 0xffff, v25
	v_lshlrev_b64 v[32:33], 2, v[1:2]
	v_add_nc_u16 v49, v0, 0x60b
	v_mad_u64_u32 v[34:35], null, s21, v34, v[27:28]
	v_mul_lo_u16 v1, 0x121, v26
	v_mad_u64_u32 v[35:36], null, s20, v38, 0
	v_add_co_u32 v30, vcc_lo, s10, v30
	v_sub_nc_u16 v27, v37, v1
	v_add_co_ci_u32_e32 v31, vcc_lo, s11, v31, vcc_lo
	v_add_co_u32 v30, vcc_lo, v30, v32
	v_mov_b32_e32 v32, v36
	v_mov_b32_e32 v29, v34
	v_and_b32_e32 v39, 0xffff, v27
	v_add_co_ci_u32_e32 v31, vcc_lo, v31, v33, vcc_lo
	v_mad_u64_u32 v[32:33], null, s21, v38, v[32:33]
	v_lshlrev_b64 v[28:29], 2, v[28:29]
	v_mad_u64_u32 v[33:34], null, s20, v39, 0
	v_mul_lo_u32 v1, s22, v22
	v_add_nc_u16 v50, v0, 0x682
	v_add_nc_u16 v65, v0, 0x6f9
	v_add_co_u32 v41, vcc_lo, s10, v28
	v_add_co_ci_u32_e32 v43, vcc_lo, s11, v29, vcc_lo
	v_mov_b32_e32 v29, v34
	v_lshrrev_b32_e32 v28, 19, v40
	v_lshlrev_b64 v[37:38], 2, v[1:2]
	v_mov_b32_e32 v36, v32
	v_mul_u32_u24_sdwa v32, v44, v18 dst_sel:DWORD dst_unused:UNUSED_PAD src0_sel:WORD_0 src1_sel:DWORD
	v_mad_u64_u32 v[39:40], null, s21, v39, v[29:30]
	v_mul_lo_u16 v29, 0x121, v28
	v_mul_lo_u32 v1, s22, v24
	v_add_co_u32 v37, vcc_lo, v41, v37
	v_lshlrev_b64 v[35:36], 2, v[35:36]
	v_sub_nc_u16 v57, v42, v29
	v_add_co_ci_u32_e32 v38, vcc_lo, v43, v38, vcc_lo
	v_mov_b32_e32 v34, v39
	v_lshrrev_b32_e32 v58, 19, v32
	v_and_b32_e32 v43, 0xffff, v57
	v_mul_u32_u24_sdwa v42, v45, v18 dst_sel:DWORD dst_unused:UNUSED_PAD src0_sel:WORD_0 src1_sel:DWORD
	v_add_co_u32 v29, vcc_lo, s10, v35
	v_lshlrev_b64 v[32:33], 2, v[33:34]
	v_mad_u64_u32 v[34:35], null, s20, v43, 0
	v_lshlrev_b64 v[40:41], 2, v[1:2]
	v_mul_lo_u32 v1, s22, v26
	v_mul_lo_u16 v39, 0x121, v58
	v_add_co_ci_u32_e32 v36, vcc_lo, s11, v36, vcc_lo
	v_lshrrev_b32_e32 v60, 19, v42
	v_add_nc_u16 v66, v0, 0x770
	v_sub_nc_u16 v59, v44, v39
	v_add_co_u32 v39, vcc_lo, v29, v40
	v_mov_b32_e32 v29, v35
	v_add_co_ci_u32_e32 v40, vcc_lo, v36, v41, vcc_lo
	v_lshlrev_b64 v[41:42], 2, v[1:2]
	v_mul_lo_u16 v1, 0x121, v60
	v_mad_u64_u32 v[35:36], null, s21, v43, v[29:30]
	v_and_b32_e32 v46, 0xffff, v59
	v_mul_u32_u24_sdwa v54, v65, v18 dst_sel:DWORD dst_unused:UNUSED_PAD src0_sel:WORD_0 src1_sel:DWORD
	v_sub_nc_u16 v36, v45, v1
	v_add_co_u32 v45, vcc_lo, s10, v32
	v_add_co_ci_u32_e32 v47, vcc_lo, s11, v33, vcc_lo
	v_mad_u64_u32 v[43:44], null, s20, v46, 0
	v_add_co_u32 v41, vcc_lo, v45, v41
	v_add_co_ci_u32_e32 v42, vcc_lo, v47, v42, vcc_lo
	v_mul_u32_u24_sdwa v47, v49, v18 dst_sel:DWORD dst_unused:UNUSED_PAD src0_sel:WORD_0 src1_sel:DWORD
	v_and_b32_e32 v48, 0xffff, v36
	v_mul_lo_u32 v1, s22, v28
	v_mov_b32_e32 v29, v44
	v_lshlrev_b64 v[34:35], 2, v[34:35]
	v_lshrrev_b32_e32 v61, 19, v47
	v_mad_u64_u32 v[32:33], null, s20, v48, 0
	v_mad_u64_u32 v[44:45], null, s21, v46, v[29:30]
	v_mul_lo_u16 v47, 0x121, v61
	v_lshlrev_b64 v[45:46], 2, v[1:2]
	v_add_co_u32 v29, vcc_lo, s10, v34
	v_mov_b32_e32 v1, v33
	v_sub_nc_u16 v62, v49, v47
	v_add_co_ci_u32_e32 v35, vcc_lo, s11, v35, vcc_lo
	v_lshlrev_b64 v[43:44], 2, v[43:44]
	v_mad_u64_u32 v[33:34], null, s21, v48, v[1:2]
	v_mul_lo_u32 v1, s22, v58
	v_and_b32_e32 v49, 0xffff, v62
	v_add_co_u32 v34, vcc_lo, v29, v45
	v_mul_u32_u24_sdwa v29, v50, v18 dst_sel:DWORD dst_unused:UNUSED_PAD src0_sel:WORD_0 src1_sel:DWORD
	v_add_co_ci_u32_e32 v35, vcc_lo, v35, v46, vcc_lo
	v_mad_u64_u32 v[47:48], null, s20, v49, 0
	v_lshlrev_b64 v[45:46], 2, v[1:2]
	v_mul_lo_u32 v1, s22, v60
	v_lshrrev_b32_e32 v63, 19, v29
	v_add_co_u32 v43, vcc_lo, s10, v43
	v_add_co_ci_u32_e32 v44, vcc_lo, s11, v44, vcc_lo
	v_lshlrev_b64 v[32:33], 2, v[32:33]
	v_mov_b32_e32 v29, v48
	v_mul_lo_u16 v51, 0x121, v63
	v_add_co_u32 v43, vcc_lo, v43, v45
	v_add_co_ci_u32_e32 v44, vcc_lo, v44, v46, vcc_lo
	v_lshlrev_b64 v[45:46], 2, v[1:2]
	v_add_co_u32 v1, vcc_lo, s10, v32
	v_mad_u64_u32 v[48:49], null, s21, v49, v[29:30]
	v_sub_nc_u16 v64, v50, v51
	v_add_co_ci_u32_e32 v29, vcc_lo, s11, v33, vcc_lo
	v_add_co_u32 v32, vcc_lo, v1, v45
	v_and_b32_e32 v53, 0xffff, v64
	v_add_co_ci_u32_e32 v33, vcc_lo, v29, v46, vcc_lo
	v_add_nc_u16 v29, v0, 0x77
	v_mad_u64_u32 v[49:50], null, s20, v0, 0
	v_mad_u64_u32 v[45:46], null, s20, v53, 0
	v_and_b32_e32 v56, 0xffff, v29
	v_lshrrev_b32_e32 v67, 19, v54
	v_lshlrev_b64 v[47:48], 2, v[47:48]
	v_mul_lo_u32 v1, s22, v61
	s_mul_i32 s6, s6, s3
	v_mad_u64_u32 v[51:52], null, s20, v56, 0
	v_mov_b32_e32 v29, v46
	v_mul_u32_u24_sdwa v46, v66, v18 dst_sel:DWORD dst_unused:UNUSED_PAD src0_sel:WORD_0 src1_sel:DWORD
	v_mov_b32_e32 v18, v50
	v_mad_u64_u32 v[53:54], null, s21, v53, v[29:30]
	v_mov_b32_e32 v29, v52
	v_mad_u64_u32 v[54:55], null, s21, v0, v[18:19]
	v_lshrrev_b32_e32 v68, 19, v46
	v_mul_lo_u16 v46, 0x121, v67
	v_mad_u64_u32 v[55:56], null, s21, v56, v[29:30]
	v_add_co_u32 v29, vcc_lo, s10, v47
	v_mov_b32_e32 v50, v54
	v_mul_lo_u16 v18, 0x121, v68
	v_add_co_ci_u32_e32 v56, vcc_lo, s11, v48, vcc_lo
	v_mov_b32_e32 v52, v55
	v_lshlrev_b64 v[49:50], 2, v[49:50]
	v_sub_nc_u16 v66, v66, v18
	v_sub_nc_u16 v65, v65, v46
	v_lshlrev_b64 v[47:48], 2, v[1:2]
	v_lshlrev_b64 v[51:52], 2, v[51:52]
	v_mov_b32_e32 v46, v53
	v_add_co_u32 v49, vcc_lo, s10, v49
	v_add_co_ci_u32_e32 v50, vcc_lo, s11, v50, vcc_lo
	v_add_co_u32 v51, vcc_lo, s10, v51
	v_and_b32_e32 v69, 0xffff, v66
	v_add_co_ci_u32_e32 v52, vcc_lo, s11, v52, vcc_lo
	v_and_b32_e32 v55, 0xffff, v65
	global_load_dword v70, v[49:50], off
	v_add_co_u32 v47, vcc_lo, v29, v47
	global_load_dword v52, v[51:52], off
	v_add_co_ci_u32_e32 v48, vcc_lo, v56, v48, vcc_lo
	global_load_dword v56, v[3:4], off
	v_mad_u64_u32 v[49:50], null, s20, v69, 0
	v_mad_u64_u32 v[53:54], null, s20, v55, 0
	v_mul_lo_u32 v1, s22, v63
	v_lshlrev_b64 v[45:46], 2, v[45:46]
	v_mov_b32_e32 v29, v50
	v_mov_b32_e32 v18, v54
	v_mad_u64_u32 v[50:51], null, s21, v69, v[29:30]
	v_mad_u64_u32 v[3:4], null, s21, v55, v[18:19]
	s_clause 0x3
	global_load_dword v29, v[5:6], off
	global_load_dword v51, v[7:8], off
	global_load_dword v55, v[9:10], off
	global_load_dword v30, v[30:31], off
	v_lshlrev_b64 v[4:5], 2, v[1:2]
	v_add_co_u32 v6, vcc_lo, s10, v45
	v_mul_lo_u32 v1, s22, v67
	global_load_dword v31, v[37:38], off
	v_add_co_ci_u32_e32 v7, vcc_lo, s11, v46, vcc_lo
	v_mov_b32_e32 v54, v3
	v_add_co_u32 v3, vcc_lo, v6, v4
	v_add_co_ci_u32_e32 v4, vcc_lo, v7, v5, vcc_lo
	v_lshlrev_b64 v[5:6], 2, v[53:54]
	s_clause 0x3
	global_load_dword v37, v[39:40], off
	global_load_dword v38, v[41:42], off
	;; [unrolled: 1-line block ×4, first 2 shown]
	v_lshlrev_b64 v[7:8], 2, v[1:2]
	v_mul_lo_u32 v1, s22, v68
	v_lshlrev_b64 v[9:10], 2, v[49:50]
	global_load_dword v32, v[32:33], off
	v_add_co_u32 v18, vcc_lo, s10, v5
	v_add_co_ci_u32_e32 v39, vcc_lo, s11, v6, vcc_lo
	v_add_co_u32 v9, vcc_lo, s10, v9
	v_lshlrev_b64 v[5:6], 2, v[1:2]
	v_add_co_ci_u32_e32 v10, vcc_lo, s11, v10, vcc_lo
	v_add_co_u32 v7, vcc_lo, v18, v7
	v_add_co_ci_u32_e32 v8, vcc_lo, v39, v8, vcc_lo
	v_add_co_u32 v5, vcc_lo, v9, v5
	v_add_co_ci_u32_e32 v6, vcc_lo, v10, v6, vcc_lo
	s_clause 0x3
	global_load_dword v9, v[47:48], off
	global_load_dword v3, v[3:4], off
	global_load_dword v4, v[7:8], off
	global_load_dword v5, v[5:6], off
	v_mul_u32_u24_e32 v1, 0x2493, v0
	v_mad_u16 v6, v0, 7, 0x341
	v_mad_u16 v10, v14, 7, v11
	;; [unrolled: 1-line block ×3, first 2 shown]
	v_lshrrev_b32_e32 v18, 16, v1
	v_mul_lo_u16 v1, v0, 7
	v_and_b32_e32 v6, 0xffff, v6
	v_mul_lo_u16 v7, v18, 7
	v_and_b32_e32 v1, 0xffff, v1
	v_lshl_add_u32 v6, v6, 2, 0
	v_sub_nc_u16 v7, v0, v7
	v_lshl_add_u32 v8, v1, 2, 0
	v_and_b32_e32 v1, 0xffff, v7
	v_and_b32_e32 v7, 0xffff, v10
	v_mad_u16 v10, v19, 7, v16
	v_lshl_add_u32 v7, v7, 2, 0
	v_and_b32_e32 v10, 0xffff, v10
	v_lshl_add_u32 v10, v10, 2, 0
	s_waitcnt vmcnt(16)
	ds_write_b32 v8, v70
	v_mad_u16 v8, v15, 7, v12
	s_waitcnt vmcnt(15)
	ds_write_b32 v6, v52
	v_mad_u16 v6, v17, 7, v13
	v_and_b32_e32 v8, 0xffff, v8
	s_waitcnt vmcnt(14)
	ds_write_b32 v7, v56
	v_and_b32_e32 v6, 0xffff, v6
	v_lshl_add_u32 v7, v8, 2, 0
	v_and_b32_e32 v8, 0xffff, v11
	v_mad_u16 v11, v23, 7, v22
	v_lshl_add_u32 v6, v6, 2, 0
	s_waitcnt vmcnt(13)
	ds_write_b32 v7, v29
	v_lshl_add_u32 v7, v8, 2, 0
	s_waitcnt vmcnt(12)
	ds_write_b32 v6, v51
	s_waitcnt vmcnt(11)
	ds_write_b32 v10, v55
	v_and_b32_e32 v6, 0xffff, v11
	v_mad_u16 v8, v25, 7, v24
	v_mad_u16 v10, v57, 7, v28
	s_waitcnt vmcnt(10)
	ds_write_b32 v7, v30
	v_mad_u16 v7, v27, 7, v26
	v_lshl_add_u32 v6, v6, 2, 0
	v_and_b32_e32 v8, 0xffff, v8
	v_mad_u16 v11, v59, 7, v58
	v_and_b32_e32 v10, 0xffff, v10
	v_and_b32_e32 v7, 0xffff, v7
	s_waitcnt vmcnt(9)
	ds_write_b32 v6, v31
	v_lshl_add_u32 v6, v8, 2, 0
	v_and_b32_e32 v8, 0xffff, v11
	v_mad_u16 v11, v36, 7, v60
	v_lshl_add_u32 v7, v7, 2, 0
	v_lshl_add_u32 v10, v10, 2, 0
	s_waitcnt vmcnt(8)
	ds_write_b32 v6, v37
	v_lshl_add_u32 v6, v8, 2, 0
	s_waitcnt vmcnt(7)
	ds_write_b32 v7, v38
	s_waitcnt vmcnt(6)
	ds_write_b32 v10, v34
	v_and_b32_e32 v7, 0xffff, v11
	v_mad_u16 v8, v62, 7, v61
	v_mad_u16 v11, v66, 7, v68
	s_waitcnt vmcnt(5)
	ds_write_b32 v6, v35
	v_mad_u16 v6, v64, 7, v63
	v_lshl_add_u32 v7, v7, 2, 0
	v_and_b32_e32 v8, 0xffff, v8
	v_mad_u16 v10, v65, 7, v67
	v_lshlrev_b32_e32 v26, 2, v1
	v_and_b32_e32 v6, 0xffff, v6
	s_waitcnt vmcnt(4)
	ds_write_b32 v7, v32
	v_lshl_add_u32 v7, v8, 2, 0
	v_and_b32_e32 v8, 0xffff, v11
	v_mul_u32_u24_e32 v11, 28, v18
	v_and_b32_e32 v10, 0xffff, v10
	v_lshl_add_u32 v6, v6, 2, 0
	v_lshl_add_u32 v8, v8, 2, 0
	v_add3_u32 v17, 0, v11, v26
	v_lshl_add_u32 v10, v10, 2, 0
	s_waitcnt vmcnt(3)
	ds_write_b32 v7, v9
	s_waitcnt vmcnt(2)
	ds_write_b32 v6, v3
	;; [unrolled: 2-line block ×4, first 2 shown]
	s_waitcnt lgkmcnt(0)
	s_barrier
	buffer_gl0_inv
	ds_read2_b32 v[5:6], v17 offset1:119
	v_add_nc_u32_e32 v19, 0x200, v17
	v_add_nc_u32_e32 v20, 0x600, v17
	;; [unrolled: 1-line block ×5, first 2 shown]
	ds_read2_b32 v[7:8], v19 offset0:110 offset1:229
	ds_read2_b32 v[28:29], v20 offset0:92 offset1:211
	;; [unrolled: 1-line block ×3, first 2 shown]
	v_add_nc_u32_e32 v22, 0x1800, v17
	v_add_nc_u32_e32 v24, 0x1600, v17
	ds_read_b32 v30, v17 offset:7616
	ds_read2_b32 v[11:12], v22 offset0:130 offset1:249
	ds_read2_b32 v[15:16], v24 offset0:20 offset1:139
	s_waitcnt lgkmcnt(6)
	v_add_f16_e32 v3, v6, v5
	v_add_f16_sdwa v4, v6, v5 dst_sel:DWORD dst_unused:UNUSED_PAD src0_sel:WORD_1 src1_sel:WORD_1
	s_waitcnt lgkmcnt(5)
	v_add_f16_e32 v3, v3, v7
	v_add_f16_sdwa v4, v4, v7 dst_sel:DWORD dst_unused:UNUSED_PAD src0_sel:DWORD src1_sel:WORD_1
	v_add_f16_e32 v13, v3, v8
	v_add_f16_sdwa v14, v4, v8 dst_sel:DWORD dst_unused:UNUSED_PAD src0_sel:DWORD src1_sel:WORD_1
	ds_read2_b32 v[3:4], v23 offset0:56 offset1:175
	s_waitcnt lgkmcnt(2)
	v_add_f16_e32 v35, v12, v7
	v_add_f16_sdwa v37, v12, v7 dst_sel:DWORD dst_unused:UNUSED_PAD src0_sel:WORD_1 src1_sel:WORD_1
	v_add_f16_e32 v13, v13, v28
	v_add_f16_sdwa v14, v14, v28 dst_sel:DWORD dst_unused:UNUSED_PAD src0_sel:DWORD src1_sel:WORD_1
	v_sub_f16_e32 v36, v7, v12
	v_sub_f16_sdwa v38, v7, v12 dst_sel:DWORD dst_unused:UNUSED_PAD src0_sel:WORD_1 src1_sel:WORD_1
	s_waitcnt lgkmcnt(1)
	v_add_f16_sdwa v33, v16, v28 dst_sel:DWORD dst_unused:UNUSED_PAD src0_sel:WORD_1 src1_sel:WORD_1
	v_add_f16_e32 v27, v13, v29
	v_add_f16_sdwa v31, v14, v29 dst_sel:DWORD dst_unused:UNUSED_PAD src0_sel:DWORD src1_sel:WORD_1
	ds_read2_b32 v[13:14], v25 offset0:38 offset1:157
	v_sub_f16_sdwa v34, v28, v16 dst_sel:DWORD dst_unused:UNUSED_PAD src0_sel:WORD_1 src1_sel:WORD_1
	v_add_f16_e32 v7, v15, v29
	v_add_f16_e32 v27, v27, v9
	v_add_f16_sdwa v31, v31, v9 dst_sel:DWORD dst_unused:UNUSED_PAD src0_sel:DWORD src1_sel:WORD_1
	v_sub_f16_sdwa v39, v6, v30 dst_sel:DWORD dst_unused:UNUSED_PAD src0_sel:WORD_1 src1_sel:WORD_1
	v_add_f16_sdwa v58, v30, v6 dst_sel:DWORD dst_unused:UNUSED_PAD src0_sel:WORD_1 src1_sel:WORD_1
	v_sub_f16_e32 v50, v8, v11
	v_add_f16_e32 v27, v27, v10
	v_add_f16_sdwa v31, v31, v10 dst_sel:DWORD dst_unused:UNUSED_PAD src0_sel:DWORD src1_sel:WORD_1
	v_mul_f16_e32 v46, 0xb5c8, v39
	v_mul_f16_e32 v47, 0xbbf7, v39
	v_add_f16_e32 v51, v30, v6
	s_waitcnt lgkmcnt(1)
	v_add_f16_e32 v27, v27, v3
	v_add_f16_sdwa v32, v31, v3 dst_sel:DWORD dst_unused:UNUSED_PAD src0_sel:DWORD src1_sel:WORD_1
	v_add_f16_e32 v31, v16, v28
	v_mul_f16_e32 v52, 0xb836, v39
	v_sub_f16_e32 v6, v6, v30
	v_add_f16_e32 v27, v27, v4
	v_add_f16_sdwa v40, v32, v4 dst_sel:DWORD dst_unused:UNUSED_PAD src0_sel:DWORD src1_sel:WORD_1
	v_sub_f16_e32 v32, v28, v16
	v_add_f16_sdwa v28, v15, v29 dst_sel:DWORD dst_unused:UNUSED_PAD src0_sel:WORD_1 src1_sel:WORD_1
	s_waitcnt lgkmcnt(0)
	v_sub_f16_sdwa v43, v9, v14 dst_sel:DWORD dst_unused:UNUSED_PAD src0_sel:WORD_1 src1_sel:WORD_1
	v_add_f16_e32 v41, v27, v13
	v_add_f16_sdwa v40, v40, v13 dst_sel:DWORD dst_unused:UNUSED_PAD src0_sel:DWORD src1_sel:WORD_1
	v_sub_f16_e32 v27, v29, v15
	v_sub_f16_sdwa v29, v29, v15 dst_sel:DWORD dst_unused:UNUSED_PAD src0_sel:WORD_1 src1_sel:WORD_1
	v_add_f16_sdwa v44, v14, v9 dst_sel:DWORD dst_unused:UNUSED_PAD src0_sel:WORD_1 src1_sel:WORD_1
	v_add_f16_e32 v42, v41, v14
	v_add_f16_sdwa v40, v40, v14 dst_sel:DWORD dst_unused:UNUSED_PAD src0_sel:DWORD src1_sel:WORD_1
	v_add_f16_e32 v41, v14, v9
	v_mul_f16_e32 v61, 0x3b76, v58
	v_mul_f16_e32 v63, 0x39e9, v58
	v_add_f16_e32 v45, v42, v15
	v_add_f16_sdwa v15, v40, v15 dst_sel:DWORD dst_unused:UNUSED_PAD src0_sel:DWORD src1_sel:WORD_1
	v_sub_f16_e32 v42, v9, v14
	v_sub_f16_sdwa v40, v10, v13 dst_sel:DWORD dst_unused:UNUSED_PAD src0_sel:WORD_1 src1_sel:WORD_1
	v_mul_f16_e32 v64, 0x3722, v58
	v_add_f16_e32 v9, v45, v16
	v_add_f16_sdwa v14, v15, v16 dst_sel:DWORD dst_unused:UNUSED_PAD src0_sel:DWORD src1_sel:WORD_1
	v_mul_f16_e32 v16, 0xb964, v39
	v_mul_f16_e32 v45, 0xbb29, v39
	v_add_f16_sdwa v15, v13, v10 dst_sel:DWORD dst_unused:UNUSED_PAD src0_sel:WORD_1 src1_sel:WORD_1
	v_add_f16_e32 v48, v9, v11
	v_add_f16_sdwa v49, v14, v11 dst_sel:DWORD dst_unused:UNUSED_PAD src0_sel:DWORD src1_sel:WORD_1
	v_add_f16_e32 v14, v13, v10
	v_sub_f16_e32 v9, v10, v13
	v_add_f16_e32 v10, v11, v8
	v_add_f16_sdwa v13, v11, v8 dst_sel:DWORD dst_unused:UNUSED_PAD src0_sel:WORD_1 src1_sel:WORD_1
	v_sub_f16_sdwa v8, v8, v11 dst_sel:DWORD dst_unused:UNUSED_PAD src0_sel:WORD_1 src1_sel:WORD_1
	v_mul_f16_e32 v11, 0xbbb2, v39
	v_add_f16_e32 v48, v48, v12
	v_add_f16_sdwa v12, v49, v12 dst_sel:DWORD dst_unused:UNUSED_PAD src0_sel:DWORD src1_sel:WORD_1
	v_mul_f16_e32 v49, 0xba62, v39
	v_mul_f16_e32 v39, 0xb1e1, v39
	;; [unrolled: 1-line block ×7, first 2 shown]
	v_fmamk_f16 v53, v51, 0x3b76, v46
	v_fma_f16 v46, v51, 0x3b76, -v46
	v_fmamk_f16 v54, v51, 0x39e9, v16
	v_fma_f16 v16, v51, 0x39e9, -v16
	;; [unrolled: 2-line block ×8, first 2 shown]
	v_fmamk_f16 v51, v6, 0x35c8, v61
	v_fmac_f16_e32 v61, 0xb5c8, v6
	v_fmamk_f16 v65, v6, 0x3964, v63
	v_fmac_f16_e32 v63, 0xb964, v6
	;; [unrolled: 2-line block ×8, first 2 shown]
	v_add_f16_e32 v6, v53, v5
	v_add_f16_sdwa v51, v51, v5 dst_sel:DWORD dst_unused:UNUSED_PAD src0_sel:DWORD src1_sel:WORD_1
	v_add_f16_e32 v46, v46, v5
	v_add_f16_sdwa v53, v61, v5 dst_sel:DWORD dst_unused:UNUSED_PAD src0_sel:DWORD src1_sel:WORD_1
	;; [unrolled: 2-line block ×16, first 2 shown]
	v_add_f16_e32 v5, v48, v30
	v_add_f16_sdwa v12, v12, v30 dst_sel:WORD_1 dst_unused:UNUSED_PAD src0_sel:DWORD src1_sel:WORD_1
	v_mul_f16_e32 v30, 0xb964, v38
	v_mul_f16_e32 v48, 0x39e9, v37
	s_barrier
	v_or_b32_sdwa v5, v12, v5 dst_sel:DWORD dst_unused:UNUSED_PAD src0_sel:DWORD src1_sel:WORD_0
	v_fmamk_f16 v12, v35, 0x39e9, v30
	v_fma_f16 v30, v35, 0x39e9, -v30
	buffer_gl0_inv
	v_add_f16_e32 v6, v12, v6
	v_fmamk_f16 v12, v36, 0x3964, v48
	v_fmac_f16_e32 v48, 0xb964, v36
	v_add_f16_e32 v30, v30, v46
	v_add_f16_e32 v12, v12, v51
	v_mul_f16_e32 v51, 0xbbf7, v38
	v_add_f16_e32 v46, v48, v53
	v_mul_f16_e32 v53, 0x2de8, v37
	v_fmamk_f16 v48, v35, 0x2de8, v51
	v_fma_f16 v51, v35, 0x2de8, -v51
	v_add_f16_e32 v48, v48, v54
	v_fmamk_f16 v54, v36, 0x3bf7, v53
	v_fmac_f16_e32 v53, 0xbbf7, v36
	v_add_f16_e32 v16, v51, v16
	v_add_f16_e32 v54, v54, v61
	v_mul_f16_e32 v61, 0xba62, v38
	v_add_f16_e32 v51, v53, v63
	v_mul_f16_e32 v63, 0xb8d2, v37
	v_fmamk_f16 v53, v35, 0xb8d2, v61
	v_fma_f16 v61, v35, 0xb8d2, -v61
	;; [unrolled: 10-line block ×5, first 2 shown]
	v_add_f16_e32 v59, v67, v59
	v_fmamk_f16 v67, v36, 0xbbb2, v68
	v_fmac_f16_e32 v68, 0x3bb2, v36
	v_add_f16_e32 v49, v69, v49
	v_add_f16_e32 v67, v67, v71
	v_mul_f16_e32 v71, 0x3b29, v38
	v_mul_f16_e32 v38, 0x35c8, v38
	v_add_f16_e32 v68, v68, v70
	v_mul_f16_e32 v70, 0x3722, v37
	v_mul_f16_e32 v37, 0x3b76, v37
	v_fmamk_f16 v69, v35, 0x3722, v71
	v_fma_f16 v71, v35, 0x3722, -v71
	v_add_f16_e32 v60, v69, v60
	v_add_f16_e32 v52, v71, v52
	v_fmamk_f16 v71, v35, 0x3b76, v38
	v_fmamk_f16 v69, v36, 0xbb29, v70
	v_fmac_f16_e32 v70, 0x3b29, v36
	v_fma_f16 v35, v35, 0x3b76, -v38
	v_fmamk_f16 v38, v36, 0xb5c8, v37
	v_fmac_f16_e32 v37, 0x35c8, v36
	v_mul_f16_e32 v36, 0xbb29, v8
	v_add_f16_e32 v62, v71, v62
	v_mul_f16_e32 v71, 0x3722, v13
	v_add_f16_e32 v70, v70, v72
	v_add_f16_e32 v35, v35, v39
	v_fmamk_f16 v72, v10, 0x3722, v36
	v_add_f16_e32 v37, v37, v58
	v_fmamk_f16 v39, v50, 0x3b29, v71
	v_mul_f16_e32 v58, 0xba62, v8
	v_fma_f16 v36, v10, 0x3722, -v36
	v_fmac_f16_e32 v71, 0xbb29, v50
	v_add_f16_e32 v6, v72, v6
	v_add_f16_e32 v12, v39, v12
	v_fmamk_f16 v39, v10, 0xb8d2, v58
	v_mul_f16_e32 v72, 0xb8d2, v13
	v_add_f16_e32 v30, v36, v30
	v_add_f16_e32 v36, v71, v46
	v_mul_f16_e32 v46, 0x31e1, v8
	v_add_f16_e32 v69, v69, v73
	v_add_f16_e32 v39, v39, v48
	v_fmamk_f16 v48, v50, 0x3a62, v72
	v_fma_f16 v58, v10, 0xb8d2, -v58
	v_fmamk_f16 v71, v10, 0xbbdd, v46
	v_mul_f16_e32 v73, 0xbbdd, v13
	v_fmac_f16_e32 v72, 0xba62, v50
	v_add_f16_e32 v48, v48, v54
	v_add_f16_e32 v16, v58, v16
	;; [unrolled: 1-line block ×3, first 2 shown]
	v_fmamk_f16 v54, v50, 0xb1e1, v73
	v_mul_f16_e32 v58, 0x3bb2, v8
	v_fma_f16 v46, v10, 0xbbdd, -v46
	v_fmac_f16_e32 v73, 0x31e1, v50
	v_mul_f16_e32 v71, 0xb461, v13
	v_add_f16_e32 v51, v72, v51
	v_add_f16_e32 v54, v54, v55
	v_fmamk_f16 v55, v10, 0xb461, v58
	v_add_f16_e32 v45, v46, v45
	v_add_f16_e32 v46, v73, v61
	v_fmamk_f16 v61, v50, 0xbbb2, v71
	v_mul_f16_e32 v72, 0x3964, v8
	v_add_f16_e32 v55, v55, v56
	v_fma_f16 v56, v10, 0xb461, -v58
	v_fmac_f16_e32 v71, 0x3bb2, v50
	v_add_f16_e32 v58, v61, v63
	v_fmamk_f16 v61, v10, 0x39e9, v72
	v_mul_f16_e32 v63, 0x39e9, v13
	v_add_f16_e32 v47, v56, v47
	v_add_f16_e32 v56, v71, v64
	v_mul_f16_e32 v64, 0xb5c8, v8
	v_add_f16_e32 v57, v61, v57
	v_fmamk_f16 v61, v50, 0xb964, v63
	v_fmac_f16_e32 v63, 0x3964, v50
	v_fma_f16 v71, v10, 0x39e9, -v72
	v_fmamk_f16 v72, v10, 0x3b76, v64
	v_mul_f16_e32 v73, 0x3b76, v13
	v_fma_f16 v64, v10, 0x3b76, -v64
	v_add_f16_e32 v63, v63, v66
	v_mul_f16_e32 v66, 0xbbf7, v8
	v_add_f16_e32 v61, v61, v65
	v_add_f16_e32 v11, v71, v11
	v_fmamk_f16 v65, v50, 0x35c8, v73
	v_mul_f16_e32 v71, 0x2de8, v13
	v_add_f16_e32 v49, v64, v49
	v_fmamk_f16 v64, v10, 0x2de8, v66
	v_fma_f16 v66, v10, 0x2de8, -v66
	v_mul_f16_e32 v8, 0xb836, v8
	v_mul_f16_e32 v13, 0xbacd, v13
	v_add_f16_e32 v38, v38, v74
	v_fmac_f16_e32 v73, 0xb5c8, v50
	v_add_f16_e32 v65, v65, v67
	v_fmamk_f16 v67, v50, 0x3bf7, v71
	v_add_f16_e32 v52, v66, v52
	v_fmamk_f16 v66, v10, 0xbacd, v8
	v_fmac_f16_e32 v71, 0xbbf7, v50
	v_fma_f16 v8, v10, 0xbacd, -v8
	v_fmamk_f16 v10, v50, 0x3836, v13
	v_fmac_f16_e32 v13, 0xb836, v50
	v_mul_f16_e32 v50, 0xbbf7, v34
	v_add_f16_e32 v62, v66, v62
	v_mul_f16_e32 v66, 0x2de8, v33
	v_add_f16_e32 v10, v10, v38
	v_add_f16_e32 v8, v8, v35
	v_fmamk_f16 v38, v31, 0x2de8, v50
	v_add_f16_e32 v13, v13, v37
	v_fmamk_f16 v35, v32, 0x3bf7, v66
	v_mul_f16_e32 v37, 0xb1e1, v34
	v_fmac_f16_e32 v66, 0xbbf7, v32
	v_add_f16_e32 v6, v38, v6
	v_fma_f16 v38, v31, 0x2de8, -v50
	v_add_f16_e32 v12, v35, v12
	v_fmamk_f16 v35, v31, 0xbbdd, v37
	v_mul_f16_e32 v50, 0xbbdd, v33
	v_add_f16_e32 v60, v64, v60
	v_add_f16_e32 v30, v38, v30
	v_mul_f16_e32 v38, 0x3bb2, v34
	v_add_f16_e32 v64, v67, v69
	v_add_f16_e32 v36, v66, v36
	;; [unrolled: 1-line block ×3, first 2 shown]
	v_fmamk_f16 v39, v32, 0x31e1, v50
	v_fma_f16 v37, v31, 0xbbdd, -v37
	v_fmac_f16_e32 v50, 0xb1e1, v32
	v_fmamk_f16 v66, v31, 0xb461, v38
	v_mul_f16_e32 v69, 0xb461, v33
	v_add_f16_e32 v39, v39, v48
	v_add_f16_e32 v16, v37, v16
	;; [unrolled: 1-line block ×4, first 2 shown]
	v_fmamk_f16 v50, v32, 0xbbb2, v69
	v_fma_f16 v38, v31, 0xb461, -v38
	v_fmac_f16_e32 v69, 0x3bb2, v32
	v_mul_f16_e32 v53, 0x3b76, v33
	v_mul_f16_e32 v51, 0x35c8, v34
	v_add_f16_e32 v50, v50, v54
	v_add_f16_e32 v38, v38, v45
	;; [unrolled: 1-line block ×3, first 2 shown]
	v_fmamk_f16 v46, v32, 0xb5c8, v53
	v_fmamk_f16 v54, v31, 0x3b76, v51
	v_mul_f16_e32 v66, 0xbb29, v34
	v_fma_f16 v51, v31, 0x3b76, -v51
	v_fmac_f16_e32 v53, 0x35c8, v32
	v_add_f16_e32 v46, v46, v58
	v_mul_f16_e32 v58, 0x3722, v33
	v_add_f16_e32 v54, v54, v55
	v_fmamk_f16 v55, v31, 0x3722, v66
	v_add_f16_e32 v47, v51, v47
	v_add_f16_e32 v51, v53, v56
	v_mul_f16_e32 v53, 0xb836, v34
	v_fmamk_f16 v56, v32, 0x3b29, v58
	v_add_f16_e32 v55, v55, v57
	v_fma_f16 v57, v31, 0x3722, -v66
	v_add_f16_e32 v59, v72, v59
	v_fmamk_f16 v66, v31, 0xbacd, v53
	v_add_f16_e32 v56, v56, v61
	v_fma_f16 v53, v31, 0xbacd, -v53
	v_mul_f16_e32 v61, 0x3a62, v34
	v_fmac_f16_e32 v58, 0xbb29, v32
	v_mul_f16_e32 v69, 0xbacd, v33
	v_mul_f16_e32 v34, 0x3964, v34
	v_add_f16_e32 v49, v53, v49
	v_fmamk_f16 v53, v31, 0xb8d2, v61
	v_fma_f16 v61, v31, 0xb8d2, -v61
	v_add_f16_e32 v11, v57, v11
	v_add_f16_e32 v57, v58, v63
	;; [unrolled: 1-line block ×3, first 2 shown]
	v_fmamk_f16 v59, v32, 0x3836, v69
	v_mul_f16_e32 v63, 0xb8d2, v33
	v_mul_f16_e32 v33, 0x39e9, v33
	v_add_f16_e32 v52, v61, v52
	v_fmamk_f16 v61, v31, 0x39e9, v34
	v_fmac_f16_e32 v69, 0xb836, v32
	v_add_f16_e32 v59, v59, v65
	v_fmamk_f16 v65, v32, 0xba62, v63
	v_fmac_f16_e32 v63, 0x3a62, v32
	v_fma_f16 v31, v31, 0x39e9, -v34
	v_fmamk_f16 v34, v32, 0xb964, v33
	v_fmac_f16_e32 v33, 0x3964, v32
	v_mul_f16_e32 v32, 0xbbb2, v29
	v_add_f16_e32 v61, v61, v62
	v_mul_f16_e32 v62, 0xb461, v28
	v_add_f16_e32 v10, v34, v10
	v_add_f16_e32 v8, v31, v8
	v_fmamk_f16 v34, v7, 0xb461, v32
	v_add_f16_e32 v13, v33, v13
	v_fmamk_f16 v31, v27, 0x3bb2, v62
	v_mul_f16_e32 v33, 0x3836, v29
	v_fma_f16 v32, v7, 0xb461, -v32
	v_fmac_f16_e32 v62, 0xbbb2, v27
	v_add_f16_e32 v6, v34, v6
	v_add_f16_e32 v12, v31, v12
	v_fmamk_f16 v31, v7, 0xbacd, v33
	v_mul_f16_e32 v34, 0xbacd, v28
	v_add_f16_e32 v30, v32, v30
	v_add_f16_e32 v32, v62, v36
	v_mul_f16_e32 v36, 0x3964, v29
	v_add_f16_e32 v53, v53, v60
	v_add_f16_e32 v60, v65, v64
	;; [unrolled: 1-line block ×3, first 2 shown]
	v_fmamk_f16 v35, v27, 0xb836, v34
	v_fma_f16 v33, v7, 0xbacd, -v33
	v_fmac_f16_e32 v34, 0x3836, v27
	v_fmamk_f16 v62, v7, 0x39e9, v36
	v_mul_f16_e32 v64, 0x39e9, v28
	v_add_f16_e32 v35, v35, v39
	v_add_f16_e32 v16, v33, v16
	;; [unrolled: 1-line block ×4, first 2 shown]
	v_fmamk_f16 v37, v27, 0xb964, v64
	v_mul_f16_e32 v39, 0xbb29, v29
	v_fma_f16 v36, v7, 0x39e9, -v36
	v_fmac_f16_e32 v64, 0x3964, v27
	v_mul_f16_e32 v48, 0x3722, v28
	v_add_f16_e32 v37, v37, v50
	v_fmamk_f16 v50, v7, 0x3722, v39
	v_add_f16_e32 v36, v36, v38
	v_add_f16_e32 v38, v64, v45
	v_fmamk_f16 v45, v27, 0x3b29, v48
	v_mul_f16_e32 v62, 0xb1e1, v29
	v_fma_f16 v39, v7, 0x3722, -v39
	v_fmac_f16_e32 v48, 0xbb29, v27
	v_add_f16_e32 v50, v50, v54
	v_add_f16_e32 v45, v45, v46
	v_fmamk_f16 v46, v7, 0xbbdd, v62
	v_mul_f16_e32 v54, 0xbbdd, v28
	v_add_f16_e32 v39, v39, v47
	v_add_f16_e32 v47, v48, v51
	v_mul_f16_e32 v48, 0x3bf7, v29
	v_add_f16_e32 v46, v46, v55
	v_fmamk_f16 v51, v27, 0x31e1, v54
	v_fma_f16 v55, v7, 0xbbdd, -v62
	v_fmac_f16_e32 v54, 0xb1e1, v27
	v_fmamk_f16 v62, v7, 0x2de8, v48
	v_mul_f16_e32 v64, 0x2de8, v28
	v_add_f16_e32 v51, v51, v56
	v_add_f16_e32 v11, v55, v11
	;; [unrolled: 1-line block ×4, first 2 shown]
	v_fmamk_f16 v56, v27, 0xbbf7, v64
	v_fma_f16 v48, v7, 0x2de8, -v48
	v_mul_f16_e32 v57, 0xb5c8, v29
	v_mul_f16_e32 v58, 0x3b76, v28
	;; [unrolled: 1-line block ×3, first 2 shown]
	v_add_f16_e32 v56, v56, v59
	v_add_f16_e32 v48, v48, v49
	v_fmamk_f16 v49, v7, 0x3b76, v57
	v_fmamk_f16 v59, v27, 0x35c8, v58
	v_fma_f16 v57, v7, 0x3b76, -v57
	v_mul_f16_e32 v28, 0xb8d2, v28
	v_fmac_f16_e32 v64, 0x3bf7, v27
	v_add_f16_e32 v49, v49, v53
	v_add_f16_e32 v53, v59, v60
	v_add_f16_e32 v52, v57, v52
	v_fmamk_f16 v57, v7, 0xb8d2, v29
	v_fmac_f16_e32 v58, 0xb5c8, v27
	v_fma_f16 v7, v7, 0xb8d2, -v29
	v_fmamk_f16 v29, v27, 0x3a62, v28
	v_fmac_f16_e32 v28, 0xba62, v27
	v_mul_f16_e32 v27, 0xba62, v43
	v_mul_f16_e32 v59, 0xb8d2, v44
	v_add_f16_e32 v7, v7, v8
	v_add_f16_e32 v10, v29, v10
	;; [unrolled: 1-line block ×3, first 2 shown]
	v_fmamk_f16 v29, v41, 0xb8d2, v27
	v_fmamk_f16 v13, v42, 0x3a62, v59
	v_mul_f16_e32 v28, 0x3bb2, v43
	v_fma_f16 v27, v41, 0xb8d2, -v27
	v_fmac_f16_e32 v59, 0xba62, v42
	v_add_f16_e32 v6, v29, v6
	v_add_f16_e32 v12, v13, v12
	v_fmamk_f16 v13, v41, 0xb461, v28
	v_mul_f16_e32 v29, 0xb461, v44
	v_add_f16_e32 v27, v27, v30
	v_add_f16_e32 v30, v59, v32
	v_mul_f16_e32 v32, 0xb5c8, v43
	v_add_f16_e32 v13, v13, v31
	v_fmamk_f16 v31, v42, 0xbbb2, v29
	v_fma_f16 v28, v41, 0xb461, -v28
	v_fmac_f16_e32 v29, 0x3bb2, v42
	v_fmamk_f16 v59, v41, 0x3b76, v32
	v_mul_f16_e32 v60, 0x3b76, v44
	v_add_f16_e32 v31, v31, v35
	v_add_f16_e32 v16, v28, v16
	;; [unrolled: 1-line block ×4, first 2 shown]
	v_fmamk_f16 v33, v42, 0x35c8, v60
	v_mul_f16_e32 v34, 0xb836, v43
	v_fma_f16 v32, v41, 0x3b76, -v32
	v_fmac_f16_e32 v60, 0xb5c8, v42
	v_mul_f16_e32 v35, 0xbacd, v44
	v_add_f16_e32 v33, v33, v37
	v_fmamk_f16 v37, v41, 0xbacd, v34
	v_add_f16_e32 v32, v32, v36
	v_add_f16_e32 v36, v60, v38
	v_fmamk_f16 v38, v42, 0x3836, v35
	v_mul_f16_e32 v59, 0x3bf7, v43
	v_fma_f16 v34, v41, 0xbacd, -v34
	v_add_f16_e32 v37, v37, v50
	v_fmac_f16_e32 v35, 0xb836, v42
	v_add_f16_e32 v38, v38, v45
	v_fmamk_f16 v45, v41, 0x2de8, v59
	v_mul_f16_e32 v50, 0x2de8, v44
	v_add_f16_e32 v34, v34, v39
	v_mul_f16_e32 v39, 0xb964, v43
	v_add_f16_e32 v35, v35, v47
	v_add_f16_e32 v45, v45, v46
	v_fmamk_f16 v46, v42, 0xbbf7, v50
	v_fma_f16 v47, v41, 0x2de8, -v59
	v_fmac_f16_e32 v50, 0x3bf7, v42
	v_fmamk_f16 v59, v41, 0x39e9, v39
	v_mul_f16_e32 v60, 0x39e9, v44
	v_add_f16_e32 v67, v71, v70
	v_add_f16_e32 v46, v46, v51
	;; [unrolled: 1-line block ×5, first 2 shown]
	v_fmamk_f16 v51, v42, 0x3964, v60
	v_fma_f16 v39, v41, 0x39e9, -v39
	v_mul_f16_e32 v54, 0xb1e1, v43
	v_mul_f16_e32 v55, 0xbbdd, v44
	v_add_f16_e32 v63, v63, v67
	v_add_f16_e32 v51, v51, v56
	;; [unrolled: 1-line block ×3, first 2 shown]
	v_fmamk_f16 v48, v41, 0xbbdd, v54
	v_fmamk_f16 v56, v42, 0x31e1, v55
	v_mul_f16_e32 v43, 0x3b29, v43
	v_mul_f16_e32 v44, 0x3722, v44
	v_add_f16_e32 v58, v58, v63
	v_fmac_f16_e32 v60, 0xb964, v42
	v_fma_f16 v54, v41, 0xbbdd, -v54
	v_add_f16_e32 v48, v48, v49
	v_add_f16_e32 v49, v56, v53
	v_fmamk_f16 v53, v41, 0x3722, v43
	v_fmac_f16_e32 v55, 0xb1e1, v42
	v_fma_f16 v41, v41, 0x3722, -v43
	v_fmamk_f16 v43, v42, 0xbb29, v44
	v_fmac_f16_e32 v44, 0x3b29, v42
	v_mul_f16_e32 v42, 0xb836, v40
	v_add_f16_e32 v52, v54, v52
	v_add_f16_e32 v54, v55, v58
	;; [unrolled: 1-line block ×3, first 2 shown]
	v_mul_f16_e32 v43, 0xbacd, v15
	v_fmamk_f16 v55, v14, 0xbacd, v42
	v_add_f16_e32 v7, v41, v7
	v_mul_f16_e32 v41, 0x3b29, v40
	v_add_f16_e32 v8, v44, v8
	v_fmamk_f16 v44, v9, 0x3836, v43
	v_add_f16_e32 v6, v55, v6
	v_fma_f16 v42, v14, 0xbacd, -v42
	v_fmamk_f16 v55, v14, 0x3722, v41
	v_fmac_f16_e32 v43, 0xb836, v9
	v_add_f16_e32 v12, v44, v12
	v_mul_f16_e32 v44, 0x3722, v15
	v_fma_f16 v41, v14, 0x3722, -v41
	v_add_f16_e32 v13, v55, v13
	v_mul_f16_e32 v55, 0x2de8, v15
	v_add_f16_e32 v27, v42, v27
	v_add_f16_e32 v30, v43, v30
	v_mul_f16_e32 v42, 0xbbf7, v40
	v_fmamk_f16 v43, v9, 0xbb29, v44
	v_add_f16_e32 v16, v41, v16
	v_fmamk_f16 v41, v9, 0x3bf7, v55
	v_fmac_f16_e32 v44, 0x3b29, v9
	v_fmamk_f16 v56, v14, 0x2de8, v42
	v_add_f16_e32 v31, v43, v31
	v_mul_f16_e32 v43, 0x3a62, v40
	v_fma_f16 v42, v14, 0x2de8, -v42
	v_fmac_f16_e32 v55, 0xbbf7, v9
	v_add_f16_e32 v33, v41, v33
	v_mul_f16_e32 v41, 0xb8d2, v15
	v_add_f16_e32 v68, v73, v68
	v_add_f16_e32 v28, v44, v28
	v_fmamk_f16 v44, v14, 0xb8d2, v43
	v_add_f16_e32 v32, v42, v32
	v_add_f16_e32 v36, v55, v36
	v_mul_f16_e32 v42, 0xb5c8, v40
	v_fmamk_f16 v55, v9, 0xba62, v41
	v_fma_f16 v43, v14, 0xb8d2, -v43
	v_add_f16_e32 v66, v69, v68
	v_add_f16_e32 v37, v44, v37
	v_fmac_f16_e32 v41, 0x3a62, v9
	v_fmamk_f16 v44, v14, 0x3b76, v42
	v_add_f16_e32 v38, v55, v38
	v_mul_f16_e32 v55, 0x3b76, v15
	v_add_f16_e32 v34, v43, v34
	v_mul_f16_e32 v43, 0xb1e1, v40
	v_add_f16_e32 v62, v64, v66
	v_add_f16_e32 v29, v56, v29
	;; [unrolled: 1-line block ×4, first 2 shown]
	v_fmamk_f16 v44, v9, 0x35c8, v55
	v_fma_f16 v42, v14, 0x3b76, -v42
	v_fmac_f16_e32 v55, 0xb5c8, v9
	v_mul_f16_e32 v45, 0xbbdd, v15
	v_fmamk_f16 v56, v14, 0xbbdd, v43
	v_add_f16_e32 v59, v60, v62
	v_add_f16_e32 v44, v44, v46
	;; [unrolled: 1-line block ×4, first 2 shown]
	v_fmamk_f16 v46, v9, 0x31e1, v45
	v_add_f16_e32 v47, v56, v50
	v_fma_f16 v43, v14, 0xbbdd, -v43
	v_fmac_f16_e32 v45, 0xb1e1, v9
	v_mul_f16_e32 v50, 0x3964, v40
	v_add_f16_e32 v57, v57, v61
	v_add_f16_e32 v46, v46, v51
	v_mul_f16_e32 v51, 0x39e9, v15
	v_add_f16_e32 v39, v43, v39
	v_add_f16_e32 v43, v45, v59
	v_fmamk_f16 v45, v14, 0x39e9, v50
	v_mul_f16_e32 v40, 0xbbb2, v40
	v_fma_f16 v50, v14, 0x39e9, -v50
	v_add_f16_e32 v53, v53, v57
	v_fmamk_f16 v55, v9, 0xb964, v51
	v_fmac_f16_e32 v51, 0x3964, v9
	v_add_f16_e32 v45, v45, v48
	v_fmamk_f16 v48, v14, 0xb461, v40
	v_add_f16_e32 v50, v50, v52
	v_sub_f16_sdwa v52, v3, v4 dst_sel:DWORD dst_unused:UNUSED_PAD src0_sel:WORD_1 src1_sel:WORD_1
	v_add_f16_e32 v51, v51, v54
	v_mul_f16_e32 v15, 0xb461, v15
	v_add_f16_e32 v48, v48, v53
	v_fma_f16 v14, v14, 0xb461, -v40
	v_add_f16_e32 v40, v4, v3
	v_mul_f16_e32 v53, 0xb1e1, v52
	v_add_f16_sdwa v54, v4, v3 dst_sel:DWORD dst_unused:UNUSED_PAD src0_sel:WORD_1 src1_sel:WORD_1
	v_add_f16_e32 v49, v55, v49
	v_fmamk_f16 v55, v9, 0x3bb2, v15
	v_fmac_f16_e32 v15, 0xbbb2, v9
	v_sub_f16_e32 v3, v3, v4
	v_fmamk_f16 v4, v40, 0xbbdd, v53
	v_mul_f16_e32 v9, 0xbbdd, v54
	v_add_f16_e32 v7, v14, v7
	v_mul_f16_e32 v14, 0x35c8, v52
	v_add_f16_e32 v8, v15, v8
	v_add_f16_e32 v4, v4, v6
	v_fmamk_f16 v6, v3, 0x31e1, v9
	v_fma_f16 v15, v40, 0xbbdd, -v53
	v_fmac_f16_e32 v9, 0xb1e1, v3
	v_mul_f16_e32 v53, 0x3b76, v54
	v_add_f16_e32 v10, v55, v10
	v_add_f16_e32 v6, v6, v12
	v_fmamk_f16 v12, v40, 0x3b76, v14
	v_add_f16_e32 v15, v15, v27
	v_add_f16_e32 v9, v9, v30
	v_fmamk_f16 v27, v3, 0xb5c8, v53
	v_mul_f16_e32 v30, 0xb836, v52
	v_add_f16_e32 v12, v12, v13
	v_fma_f16 v13, v40, 0x3b76, -v14
	v_fmac_f16_e32 v53, 0x35c8, v3
	v_add_f16_e32 v14, v27, v31
	v_fmamk_f16 v27, v40, 0xbacd, v30
	v_mul_f16_e32 v31, 0xbacd, v54
	v_add_f16_e32 v13, v13, v16
	v_add_f16_e32 v16, v53, v28
	v_mul_f16_e32 v28, 0x3964, v52
	v_add_f16_e32 v27, v27, v29
	v_fmamk_f16 v29, v3, 0x3836, v31
	v_fma_f16 v30, v40, 0xbacd, -v30
	v_fmac_f16_e32 v31, 0xb836, v3
	v_fmamk_f16 v53, v40, 0x39e9, v28
	v_mul_f16_e32 v55, 0x39e9, v54
	v_add_f16_e32 v29, v29, v33
	v_add_f16_e32 v30, v30, v32
	v_add_f16_e32 v31, v31, v36
	v_add_f16_e32 v32, v53, v37
	v_fmamk_f16 v33, v3, 0xb964, v55
	v_mul_f16_e32 v36, 0xba62, v52
	v_fma_f16 v28, v40, 0x39e9, -v28
	v_fmac_f16_e32 v55, 0x3964, v3
	v_mul_f16_e32 v37, 0xb8d2, v54
	v_add_f16_e32 v33, v33, v38
	v_fmamk_f16 v38, v40, 0xb8d2, v36
	v_add_f16_e32 v28, v28, v34
	v_add_f16_e32 v34, v55, v35
	v_fmamk_f16 v35, v3, 0x3a62, v37
	v_mul_f16_e32 v53, 0x3b29, v52
	v_fma_f16 v36, v40, 0xb8d2, -v36
	v_fmac_f16_e32 v37, 0xba62, v3
	v_add_f16_e32 v38, v38, v41
	v_add_f16_e32 v35, v35, v44
	v_fmamk_f16 v41, v40, 0x3722, v53
	v_mul_f16_e32 v44, 0x3722, v54
	v_add_f16_e32 v11, v36, v11
	v_add_f16_e32 v36, v37, v42
	v_mul_f16_e32 v37, 0xbbb2, v52
	v_add_f16_e32 v41, v41, v47
	v_fmamk_f16 v42, v3, 0xbb29, v44
	v_fma_f16 v47, v40, 0x3722, -v53
	v_fmac_f16_e32 v44, 0x3b29, v3
	v_fmamk_f16 v53, v40, 0xb461, v37
	v_mul_f16_e32 v55, 0xb461, v54
	v_add_f16_e32 v42, v42, v46
	v_add_f16_e32 v39, v47, v39
	;; [unrolled: 1-line block ×4, first 2 shown]
	v_fmamk_f16 v45, v3, 0x3bb2, v55
	v_fma_f16 v37, v40, 0xb461, -v37
	v_mul_f16_e32 v46, 0x3bf7, v52
	v_fmac_f16_e32 v55, 0xbbb2, v3
	v_mul_f16_e32 v47, 0x2de8, v54
	v_add_f16_e32 v45, v45, v49
	v_add_f16_e32 v37, v37, v50
	v_fmamk_f16 v49, v40, 0x2de8, v46
	v_add_f16_e32 v50, v55, v51
	v_fmamk_f16 v51, v3, 0xbbf7, v47
	v_fma_f16 v40, v40, 0x2de8, -v46
	v_mul_u32_u24_e32 v46, 0x1dc, v18
	v_fmac_f16_e32 v47, 0x3bf7, v3
	v_pack_b32_f16 v4, v4, v6
	v_add_f16_e32 v3, v51, v10
	v_add_f16_e32 v48, v49, v48
	v_add3_u32 v10, 0, v46, v26
	v_add_f16_e32 v7, v40, v7
	v_add_f16_e32 v6, v47, v8
	v_pack_b32_f16 v8, v32, v33
	v_pack_b32_f16 v26, v44, v45
	ds_write2_b32 v10, v5, v4 offset1:7
	v_pack_b32_f16 v4, v12, v14
	v_pack_b32_f16 v5, v27, v29
	v_mul_lo_u16 v27, v18, 31
	v_pack_b32_f16 v12, v38, v35
	v_pack_b32_f16 v14, v41, v42
	ds_write2_b32 v10, v4, v5 offset0:14 offset1:21
	ds_write2_b32 v10, v8, v12 offset0:28 offset1:35
	v_lshrrev_b16 v4, 9, v27
	v_pack_b32_f16 v3, v48, v3
	v_pack_b32_f16 v6, v7, v6
	ds_write2_b32 v10, v14, v26 offset0:42 offset1:49
	ds_write2_b32 v10, v3, v6 offset0:56 offset1:63
	v_mul_lo_u16 v3, v4, 17
	v_mov_b32_e32 v12, 6
	v_pack_b32_f16 v5, v37, v50
	v_pack_b32_f16 v6, v39, v43
	;; [unrolled: 1-line block ×3, first 2 shown]
	v_sub_nc_u16 v3, v18, v3
	v_pack_b32_f16 v4, v11, v36
	v_pack_b32_f16 v7, v28, v34
	;; [unrolled: 1-line block ×4, first 2 shown]
	v_lshlrev_b32_sdwa v12, v12, v3 dst_sel:DWORD dst_unused:UNUSED_PAD src0_sel:DWORD src1_sel:BYTE_0
	ds_write2_b32 v10, v5, v6 offset0:70 offset1:77
	ds_write2_b32 v10, v4, v7 offset0:84 offset1:91
	;; [unrolled: 1-line block ×3, first 2 shown]
	ds_write_b32 v10, v9 offset:448
	s_waitcnt lgkmcnt(0)
	s_barrier
	buffer_gl0_inv
	s_clause 0x3
	global_load_dwordx4 v[4:7], v12, s[8:9]
	global_load_dwordx4 v[8:11], v12, s[8:9] offset:16
	global_load_dwordx4 v[27:30], v12, s[8:9] offset:32
	;; [unrolled: 1-line block ×3, first 2 shown]
	ds_read2_b32 v[13:14], v20 offset0:92 offset1:211
	ds_read2_b32 v[15:16], v21 offset0:74 offset1:193
	;; [unrolled: 1-line block ×3, first 2 shown]
	ds_read2_b32 v[37:38], v17 offset1:119
	ds_read2_b32 v[18:19], v19 offset0:110 offset1:229
	ds_read2_b32 v[39:40], v25 offset0:38 offset1:157
	ds_read_u16 v12, v17 offset:1430
	ds_read2_b32 v[41:42], v24 offset0:20 offset1:139
	ds_read2_b32 v[43:44], v22 offset0:130 offset1:249
	ds_read_b32 v45, v17 offset:7616
	s_waitcnt lgkmcnt(9)
	v_lshrrev_b32_e32 v17, 16, v13
	v_lshrrev_b32_e32 v20, 16, v14
	s_waitcnt lgkmcnt(8)
	v_lshrrev_b32_e32 v23, 16, v15
	s_waitcnt lgkmcnt(6)
	;; [unrolled: 2-line block ×3, first 2 shown]
	v_lshrrev_b32_e32 v22, 16, v18
	v_lshrrev_b32_e32 v24, 16, v16
	s_waitcnt lgkmcnt(4)
	v_lshrrev_b32_e32 v49, 16, v40
	v_lshrrev_b32_e32 v46, 16, v35
	;; [unrolled: 1-line block ×4, first 2 shown]
	s_waitcnt lgkmcnt(2)
	v_lshrrev_b32_e32 v54, 16, v41
	s_waitcnt lgkmcnt(1)
	v_lshrrev_b32_e32 v55, 16, v43
	s_waitcnt vmcnt(3)
	v_mul_f16_sdwa v26, v5, v18 dst_sel:DWORD dst_unused:UNUSED_PAD src0_sel:WORD_1 src1_sel:DWORD
	v_mul_f16_sdwa v50, v5, v22 dst_sel:DWORD dst_unused:UNUSED_PAD src0_sel:WORD_1 src1_sel:DWORD
	;; [unrolled: 1-line block ×4, first 2 shown]
	v_fma_f16 v53, v5, v22, -v26
	v_mul_f16_sdwa v22, v6, v19 dst_sel:DWORD dst_unused:UNUSED_PAD src0_sel:WORD_1 src1_sel:DWORD
	v_fmac_f16_e32 v50, v5, v18
	v_mul_f16_sdwa v5, v13, v7 dst_sel:DWORD dst_unused:UNUSED_PAD src0_sel:DWORD src1_sel:WORD_1
	v_fma_f16 v51, v4, v21, -v25
	v_mul_f16_sdwa v25, v12, v6 dst_sel:DWORD dst_unused:UNUSED_PAD src0_sel:DWORD src1_sel:WORD_1
	v_mul_f16_sdwa v21, v17, v7 dst_sel:DWORD dst_unused:UNUSED_PAD src0_sel:DWORD src1_sel:WORD_1
	v_fma_f16 v26, v12, v6, -v22
	v_fmac_f16_e32 v52, v4, v38
	v_fma_f16 v22, v17, v7, -v5
	s_waitcnt vmcnt(2)
	v_mul_f16_sdwa v17, v20, v8 dst_sel:DWORD dst_unused:UNUSED_PAD src0_sel:DWORD src1_sel:WORD_1
	v_mul_f16_sdwa v4, v14, v8 dst_sel:DWORD dst_unused:UNUSED_PAD src0_sel:DWORD src1_sel:WORD_1
	v_fmac_f16_e32 v25, v6, v19
	v_fmac_f16_e32 v21, v13, v7
	v_mul_f16_sdwa v13, v23, v9 dst_sel:DWORD dst_unused:UNUSED_PAD src0_sel:DWORD src1_sel:WORD_1
	v_fmac_f16_e32 v17, v14, v8
	v_fma_f16 v18, v20, v8, -v4
	v_mul_f16_sdwa v8, v24, v10 dst_sel:DWORD dst_unused:UNUSED_PAD src0_sel:DWORD src1_sel:WORD_1
	v_mul_f16_sdwa v6, v16, v10 dst_sel:DWORD dst_unused:UNUSED_PAD src0_sel:DWORD src1_sel:WORD_1
	;; [unrolled: 1-line block ×3, first 2 shown]
	v_fmac_f16_e32 v13, v15, v9
	v_mul_f16_sdwa v7, v35, v11 dst_sel:DWORD dst_unused:UNUSED_PAD src0_sel:DWORD src1_sel:WORD_1
	v_fmac_f16_e32 v8, v16, v10
	v_fma_f16 v10, v24, v10, -v6
	s_waitcnt lgkmcnt(0)
	v_lshrrev_b32_e32 v24, 16, v45
	s_waitcnt vmcnt(1)
	v_mul_f16_sdwa v15, v49, v29 dst_sel:DWORD dst_unused:UNUSED_PAD src0_sel:DWORD src1_sel:WORD_1
	v_mul_f16_sdwa v16, v40, v29 dst_sel:DWORD dst_unused:UNUSED_PAD src0_sel:DWORD src1_sel:WORD_1
	v_fma_f16 v14, v23, v9, -v5
	v_mul_f16_sdwa v4, v46, v11 dst_sel:DWORD dst_unused:UNUSED_PAD src0_sel:DWORD src1_sel:WORD_1
	v_mul_f16_sdwa v5, v47, v27 dst_sel:DWORD dst_unused:UNUSED_PAD src0_sel:DWORD src1_sel:WORD_1
	v_fma_f16 v6, v46, v11, -v7
	v_mul_f16_sdwa v7, v36, v27 dst_sel:DWORD dst_unused:UNUSED_PAD src0_sel:DWORD src1_sel:WORD_1
	v_fmac_f16_e32 v15, v40, v29
	v_fma_f16 v16, v49, v29, -v16
	s_waitcnt vmcnt(0)
	v_mul_f16_sdwa v29, v24, v34 dst_sel:DWORD dst_unused:UNUSED_PAD src0_sel:DWORD src1_sel:WORD_1
	v_lshrrev_b32_e32 v38, 16, v42
	v_fmac_f16_e32 v4, v35, v11
	v_mul_f16_sdwa v11, v48, v28 dst_sel:DWORD dst_unused:UNUSED_PAD src0_sel:DWORD src1_sel:WORD_1
	v_fmac_f16_e32 v5, v36, v27
	v_mul_f16_sdwa v12, v39, v28 dst_sel:DWORD dst_unused:UNUSED_PAD src0_sel:DWORD src1_sel:WORD_1
	v_fma_f16 v7, v47, v27, -v7
	v_mul_f16_sdwa v20, v41, v30 dst_sel:DWORD dst_unused:UNUSED_PAD src0_sel:DWORD src1_sel:WORD_1
	v_mul_f16_sdwa v27, v45, v34 dst_sel:DWORD dst_unused:UNUSED_PAD src0_sel:DWORD src1_sel:WORD_1
	v_fmac_f16_e32 v29, v45, v34
	v_fmac_f16_e32 v11, v39, v28
	v_fma_f16 v12, v48, v28, -v12
	v_mul_f16_sdwa v19, v54, v30 dst_sel:DWORD dst_unused:UNUSED_PAD src0_sel:DWORD src1_sel:WORD_1
	v_mul_f16_sdwa v23, v38, v31 dst_sel:DWORD dst_unused:UNUSED_PAD src0_sel:DWORD src1_sel:WORD_1
	v_mul_f16_sdwa v28, v42, v31 dst_sel:DWORD dst_unused:UNUSED_PAD src0_sel:DWORD src1_sel:WORD_1
	v_fma_f16 v20, v54, v30, -v20
	v_fma_f16 v27, v24, v34, -v27
	v_add_f16_e32 v36, v52, v29
	v_sub_f16_e32 v54, v52, v29
	v_add_f16_e32 v52, v52, v37
	v_fmac_f16_e32 v23, v42, v31
	v_fma_f16 v24, v38, v31, -v28
	v_sub_f16_e32 v31, v51, v27
	v_add_f16_e32 v47, v51, v27
	v_add_f16_sdwa v51, v51, v37 dst_sel:DWORD dst_unused:UNUSED_PAD src0_sel:DWORD src1_sel:WORD_1
	v_add_f16_e32 v52, v52, v50
	v_lshrrev_b32_e32 v9, 16, v44
	v_fmac_f16_e32 v19, v41, v30
	v_mul_f16_sdwa v30, v55, v32 dst_sel:DWORD dst_unused:UNUSED_PAD src0_sel:DWORD src1_sel:WORD_1
	v_add_f16_e32 v51, v51, v53
	v_add_f16_e32 v52, v52, v25
	v_mul_f16_sdwa v28, v43, v32 dst_sel:DWORD dst_unused:UNUSED_PAD src0_sel:DWORD src1_sel:WORD_1
	v_mul_f16_sdwa v34, v9, v33 dst_sel:DWORD dst_unused:UNUSED_PAD src0_sel:DWORD src1_sel:WORD_1
	v_mul_f16_sdwa v35, v44, v33 dst_sel:DWORD dst_unused:UNUSED_PAD src0_sel:DWORD src1_sel:WORD_1
	v_add_f16_e32 v51, v51, v26
	v_add_f16_e32 v52, v52, v21
	v_fmac_f16_e32 v30, v43, v32
	v_mul_f16_e32 v38, 0xb5c8, v31
	v_fma_f16 v28, v55, v32, -v28
	v_add_f16_e32 v51, v51, v22
	v_add_f16_e32 v52, v52, v17
	v_fmac_f16_e32 v34, v44, v33
	v_mul_f16_e32 v32, 0xb964, v31
	v_fma_f16 v9, v9, v33, -v35
	v_add_f16_e32 v51, v51, v18
	v_add_f16_e32 v52, v52, v13
	v_mul_f16_e32 v35, 0xbb29, v31
	v_mul_f16_e32 v40, 0xbbf7, v31
	v_mul_f16_e32 v42, 0xbbb2, v31
	v_add_f16_e32 v51, v51, v14
	v_add_f16_e32 v52, v52, v8
	v_mul_f16_e32 v44, 0xba62, v31
	v_mul_f16_e32 v46, 0xb836, v31
	v_mul_f16_e32 v31, 0xb1e1, v31
	;; [unrolled: 5-line block ×4, first 2 shown]
	v_add_f16_e32 v51, v51, v7
	v_add_f16_e32 v52, v52, v11
	v_mul_f16_e32 v66, 0xbacd, v47
	v_mul_f16_e32 v47, 0xbbdd, v47
	v_fmamk_f16 v33, v36, 0x3b76, v38
	v_add_f16_e32 v51, v51, v12
	v_add_f16_e32 v52, v52, v15
	v_fma_f16 v38, v36, 0x3b76, -v38
	v_fmamk_f16 v39, v36, 0x39e9, v32
	v_fma_f16 v32, v36, 0x39e9, -v32
	v_add_f16_e32 v51, v51, v16
	v_add_f16_e32 v52, v52, v19
	v_fmamk_f16 v41, v36, 0x3722, v35
	v_fma_f16 v35, v36, 0x3722, -v35
	v_fmamk_f16 v43, v36, 0x2de8, v40
	v_add_f16_e32 v51, v51, v20
	v_add_f16_e32 v52, v52, v23
	v_fma_f16 v40, v36, 0x2de8, -v40
	v_fmamk_f16 v45, v36, 0xb461, v42
	v_fma_f16 v42, v36, 0xb461, -v42
	v_fmamk_f16 v48, v36, 0xb8d2, v44
	;; [unrolled: 2-line block ×5, first 2 shown]
	v_fmac_f16_e32 v55, 0xb5c8, v54
	v_fmamk_f16 v59, v54, 0x3964, v57
	v_fmamk_f16 v61, v54, 0x3b29, v58
	;; [unrolled: 1-line block ×7, first 2 shown]
	v_add_f16_e32 v51, v51, v24
	v_add_f16_e32 v52, v52, v30
	v_fmac_f16_e32 v57, 0xb964, v54
	v_fmac_f16_e32 v58, 0xbb29, v54
	;; [unrolled: 1-line block ×7, first 2 shown]
	v_add_f16_sdwa v54, v55, v37 dst_sel:DWORD dst_unused:UNUSED_PAD src0_sel:DWORD src1_sel:WORD_1
	v_add_f16_sdwa v55, v59, v37 dst_sel:DWORD dst_unused:UNUSED_PAD src0_sel:DWORD src1_sel:WORD_1
	;; [unrolled: 1-line block ×7, first 2 shown]
	v_add_f16_e32 v51, v51, v28
	v_add_f16_e32 v52, v52, v34
	v_add_f16_sdwa v68, v69, v37 dst_sel:DWORD dst_unused:UNUSED_PAD src0_sel:DWORD src1_sel:WORD_1
	v_sub_f16_e32 v69, v53, v9
	v_add_f16_e32 v33, v33, v37
	v_add_f16_e32 v51, v51, v9
	;; [unrolled: 1-line block ×5, first 2 shown]
	v_mul_f16_e32 v70, 0xb964, v69
	v_add_f16_sdwa v9, v51, v27 dst_sel:WORD_1 dst_unused:UNUSED_PAD src0_sel:DWORD src1_sel:DWORD
	v_sub_f16_e32 v27, v50, v34
	v_mul_f16_e32 v34, 0x39e9, v52
	v_add_f16_sdwa v36, v36, v37 dst_sel:DWORD dst_unused:UNUSED_PAD src0_sel:DWORD src1_sel:WORD_1
	v_fmamk_f16 v50, v53, 0x39e9, v70
	v_add_f16_e32 v38, v38, v37
	v_add_f16_e32 v39, v39, v37
	;; [unrolled: 1-line block ×3, first 2 shown]
	v_add_f16_sdwa v57, v57, v37 dst_sel:DWORD dst_unused:UNUSED_PAD src0_sel:DWORD src1_sel:WORD_1
	v_add_f16_e32 v41, v41, v37
	v_add_f16_e32 v35, v35, v37
	v_add_f16_sdwa v58, v58, v37 dst_sel:DWORD dst_unused:UNUSED_PAD src0_sel:DWORD src1_sel:WORD_1
	v_add_f16_e32 v43, v43, v37
	v_add_f16_e32 v40, v40, v37
	;; [unrolled: 3-line block ×6, first 2 shown]
	v_add_f16_sdwa v37, v47, v37 dst_sel:DWORD dst_unused:UNUSED_PAD src0_sel:DWORD src1_sel:WORD_1
	v_or_b32_sdwa v9, v9, v29 dst_sel:DWORD dst_unused:UNUSED_PAD src0_sel:DWORD src1_sel:WORD_0
	v_fmamk_f16 v29, v27, 0x3964, v34
	v_mul_f16_e32 v47, 0xbbf7, v69
	v_add_f16_e32 v33, v50, v33
	v_fma_f16 v50, v53, 0x39e9, -v70
	v_fmac_f16_e32 v34, 0xb964, v27
	v_add_f16_e32 v29, v29, v36
	v_fmamk_f16 v36, v53, 0x2de8, v47
	v_mul_f16_e32 v51, 0x2de8, v52
	v_add_f16_e32 v38, v50, v38
	v_mul_f16_e32 v50, 0xba62, v69
	v_add_f16_e32 v34, v34, v54
	v_add_f16_e32 v36, v36, v39
	v_fmamk_f16 v39, v27, 0x3bf7, v51
	v_fma_f16 v47, v53, 0x2de8, -v47
	v_fmac_f16_e32 v51, 0xbbf7, v27
	v_fmamk_f16 v54, v53, 0xb8d2, v50
	v_mul_f16_e32 v70, 0xb8d2, v52
	v_add_f16_e32 v39, v39, v55
	v_add_f16_e32 v32, v47, v32
	;; [unrolled: 1-line block ×4, first 2 shown]
	v_fmamk_f16 v51, v27, 0x3a62, v70
	v_mul_f16_e32 v54, 0xb1e1, v69
	v_fma_f16 v50, v53, 0xb8d2, -v50
	v_fmac_f16_e32 v70, 0xba62, v27
	v_mul_f16_e32 v55, 0xbbdd, v52
	v_add_f16_e32 v51, v51, v59
	v_fmamk_f16 v57, v53, 0xbbdd, v54
	v_add_f16_e32 v35, v50, v35
	v_add_f16_e32 v50, v70, v58
	v_fmamk_f16 v58, v27, 0x31e1, v55
	v_mul_f16_e32 v59, 0x3836, v69
	v_fma_f16 v54, v53, 0xbbdd, -v54
	v_fmac_f16_e32 v55, 0xb1e1, v27
	v_add_f16_e32 v43, v57, v43
	v_add_f16_e32 v57, v58, v61
	v_fmamk_f16 v58, v53, 0xbacd, v59
	v_mul_f16_e32 v61, 0xbacd, v52
	v_add_f16_e32 v40, v54, v40
	v_add_f16_e32 v54, v55, v60
	v_mul_f16_e32 v55, 0x3bb2, v69
	v_add_f16_e32 v45, v58, v45
	v_fmamk_f16 v58, v27, 0xb836, v61
	v_fma_f16 v59, v53, 0xbacd, -v59
	v_fmac_f16_e32 v61, 0x3836, v27
	v_fmamk_f16 v60, v53, 0xb461, v55
	v_mul_f16_e32 v70, 0xb461, v52
	v_fma_f16 v55, v53, 0xb461, -v55
	v_add_f16_e32 v42, v59, v42
	v_add_f16_e32 v59, v61, v62
	;; [unrolled: 1-line block ×3, first 2 shown]
	v_fmamk_f16 v60, v27, 0xbbb2, v70
	v_mul_f16_e32 v61, 0x3b29, v69
	v_fmac_f16_e32 v70, 0x3bb2, v27
	v_mul_f16_e32 v62, 0x3722, v52
	v_add_f16_e32 v44, v55, v44
	v_add_f16_e32 v60, v60, v64
	v_fmamk_f16 v55, v53, 0x3722, v61
	v_add_f16_e32 v64, v70, v65
	v_fma_f16 v61, v53, 0x3722, -v61
	v_mul_f16_e32 v65, 0x35c8, v69
	v_add_f16_e32 v58, v58, v63
	v_fmamk_f16 v63, v27, 0xbb29, v62
	v_mul_f16_e32 v52, 0x3b76, v52
	v_add_f16_e32 v46, v61, v46
	v_fmamk_f16 v61, v53, 0x3b76, v65
	v_fmac_f16_e32 v62, 0x3b29, v27
	v_fma_f16 v53, v53, 0x3b76, -v65
	v_sub_f16_e32 v65, v26, v28
	v_add_f16_e32 v26, v26, v28
	v_add_f16_e32 v49, v55, v49
	;; [unrolled: 1-line block ×3, first 2 shown]
	v_fmamk_f16 v63, v27, 0xb5c8, v52
	v_fmac_f16_e32 v52, 0x35c8, v27
	v_add_f16_e32 v27, v62, v66
	v_add_f16_e32 v28, v25, v30
	v_mul_f16_e32 v62, 0xbb29, v65
	v_sub_f16_e32 v25, v25, v30
	v_mul_f16_e32 v30, 0x3722, v26
	v_add_f16_e32 v56, v61, v56
	v_add_f16_e32 v61, v63, v68
	v_fmamk_f16 v63, v28, 0x3722, v62
	v_add_f16_e32 v31, v53, v31
	v_add_f16_e32 v37, v52, v37
	v_fmamk_f16 v52, v25, 0x3b29, v30
	v_mul_f16_e32 v53, 0xba62, v65
	v_fmac_f16_e32 v30, 0xbb29, v25
	v_add_f16_e32 v33, v63, v33
	v_fma_f16 v62, v28, 0x3722, -v62
	v_add_f16_e32 v29, v52, v29
	v_fmamk_f16 v52, v28, 0xb8d2, v53
	v_mul_f16_e32 v63, 0xb8d2, v26
	v_add_f16_e32 v30, v30, v34
	v_mul_f16_e32 v34, 0x31e1, v65
	v_add_f16_e32 v38, v62, v38
	v_add_f16_e32 v36, v52, v36
	v_fmamk_f16 v52, v25, 0x3a62, v63
	v_fma_f16 v53, v28, 0xb8d2, -v53
	v_fmamk_f16 v62, v28, 0xbbdd, v34
	v_mul_f16_e32 v66, 0xbbdd, v26
	v_fmac_f16_e32 v63, 0xba62, v25
	v_add_f16_e32 v39, v52, v39
	v_add_f16_e32 v32, v53, v32
	;; [unrolled: 1-line block ×3, first 2 shown]
	v_fmamk_f16 v52, v25, 0xb1e1, v66
	v_mul_f16_e32 v53, 0x3bb2, v65
	v_fma_f16 v34, v28, 0xbbdd, -v34
	v_fmac_f16_e32 v66, 0x31e1, v25
	v_mul_f16_e32 v62, 0xb461, v26
	v_add_f16_e32 v47, v63, v47
	v_add_f16_e32 v51, v52, v51
	v_fmamk_f16 v52, v28, 0xb461, v53
	v_add_f16_e32 v34, v34, v35
	v_add_f16_e32 v35, v66, v50
	v_fmamk_f16 v50, v25, 0xbbb2, v62
	v_mul_f16_e32 v63, 0x3964, v65
	v_add_f16_e32 v43, v52, v43
	v_fma_f16 v52, v28, 0xb461, -v53
	v_fmac_f16_e32 v62, 0x3bb2, v25
	v_add_f16_e32 v50, v50, v57
	v_fmamk_f16 v53, v28, 0x39e9, v63
	v_mul_f16_e32 v57, 0x39e9, v26
	v_add_f16_e32 v40, v52, v40
	v_add_f16_e32 v52, v62, v54
	v_mul_f16_e32 v54, 0xb5c8, v65
	v_add_f16_e32 v45, v53, v45
	v_fmamk_f16 v53, v25, 0xb964, v57
	v_fma_f16 v62, v28, 0x39e9, -v63
	v_fmac_f16_e32 v57, 0x3964, v25
	v_mul_f16_e32 v66, 0x3b76, v26
	v_fmamk_f16 v63, v28, 0x3b76, v54
	v_add_f16_e32 v53, v53, v58
	v_add_f16_e32 v42, v62, v42
	;; [unrolled: 1-line block ×3, first 2 shown]
	v_fmamk_f16 v58, v25, 0x35c8, v66
	v_fma_f16 v54, v28, 0x3b76, -v54
	v_mul_f16_e32 v59, 0xbbf7, v65
	v_mul_f16_e32 v62, 0x2de8, v26
	v_fmac_f16_e32 v66, 0xb5c8, v25
	v_add_f16_e32 v58, v58, v60
	v_add_f16_e32 v44, v54, v44
	v_fmamk_f16 v54, v28, 0x2de8, v59
	v_fmamk_f16 v60, v25, 0x3bf7, v62
	v_add_f16_e32 v48, v63, v48
	v_add_f16_e32 v63, v66, v64
	v_fma_f16 v59, v28, 0x2de8, -v59
	v_mul_f16_e32 v64, 0xb836, v65
	v_add_f16_e32 v49, v54, v49
	v_add_f16_e32 v54, v60, v55
	v_mul_f16_e32 v26, 0xbacd, v26
	v_fmac_f16_e32 v62, 0xbbf7, v25
	v_sub_f16_e32 v60, v22, v24
	v_add_f16_e32 v46, v59, v46
	v_fmamk_f16 v55, v28, 0xbacd, v64
	v_fma_f16 v28, v28, 0xbacd, -v64
	v_fmamk_f16 v59, v25, 0x3836, v26
	v_fmac_f16_e32 v26, 0xb836, v25
	v_add_f16_e32 v25, v62, v27
	v_add_f16_e32 v22, v22, v24
	;; [unrolled: 1-line block ×3, first 2 shown]
	v_mul_f16_e32 v27, 0xbbf7, v60
	v_add_f16_e32 v55, v55, v56
	v_add_f16_e32 v56, v59, v61
	v_sub_f16_e32 v21, v21, v23
	v_mul_f16_e32 v23, 0x2de8, v22
	v_fmamk_f16 v59, v24, 0x2de8, v27
	v_add_f16_e32 v28, v28, v31
	v_mul_f16_e32 v31, 0xb1e1, v60
	v_add_f16_e32 v26, v26, v37
	v_fmamk_f16 v37, v21, 0x3bf7, v23
	v_add_f16_e32 v33, v59, v33
	v_fmac_f16_e32 v23, 0xbbf7, v21
	v_fmamk_f16 v59, v24, 0xbbdd, v31
	v_fma_f16 v27, v24, 0x2de8, -v27
	v_add_f16_e32 v29, v37, v29
	v_mul_f16_e32 v37, 0xbbdd, v22
	v_add_f16_e32 v23, v23, v30
	v_add_f16_e32 v30, v59, v36
	v_mul_f16_e32 v36, 0x3bb2, v60
	v_add_f16_e32 v27, v27, v38
	v_fmamk_f16 v38, v21, 0x31e1, v37
	v_fma_f16 v31, v24, 0xbbdd, -v31
	v_fmac_f16_e32 v37, 0xb1e1, v21
	v_mul_f16_e32 v59, 0xb461, v22
	v_fmamk_f16 v61, v24, 0xb461, v36
	v_add_f16_e32 v38, v38, v39
	v_add_f16_e32 v31, v31, v32
	;; [unrolled: 1-line block ×3, first 2 shown]
	v_fmamk_f16 v37, v21, 0xbbb2, v59
	v_add_f16_e32 v39, v61, v41
	v_mul_f16_e32 v41, 0x35c8, v60
	v_fma_f16 v36, v24, 0xb461, -v36
	v_fmac_f16_e32 v59, 0x3bb2, v21
	v_mul_f16_e32 v47, 0x3b76, v22
	v_add_f16_e32 v37, v37, v51
	v_fmamk_f16 v51, v24, 0x3b76, v41
	v_add_f16_e32 v34, v36, v34
	v_add_f16_e32 v35, v59, v35
	v_mul_f16_e32 v36, 0xbb29, v60
	v_fmamk_f16 v59, v21, 0xb5c8, v47
	v_add_f16_e32 v43, v51, v43
	v_fma_f16 v41, v24, 0x3b76, -v41
	v_fmac_f16_e32 v47, 0x35c8, v21
	v_fmamk_f16 v51, v24, 0x3722, v36
	v_add_f16_e32 v50, v59, v50
	v_mul_f16_e32 v59, 0x3722, v22
	v_add_f16_e32 v40, v41, v40
	v_add_f16_e32 v41, v47, v52
	;; [unrolled: 1-line block ×3, first 2 shown]
	v_mul_f16_e32 v47, 0xb836, v60
	v_fmamk_f16 v51, v21, 0x3b29, v59
	v_fma_f16 v36, v24, 0x3722, -v36
	v_fmac_f16_e32 v59, 0xbb29, v21
	v_mul_f16_e32 v52, 0xbacd, v22
	v_fmamk_f16 v61, v24, 0xbacd, v47
	v_add_f16_e32 v51, v51, v53
	v_add_f16_e32 v36, v36, v42
	;; [unrolled: 1-line block ×3, first 2 shown]
	v_fmamk_f16 v53, v21, 0x3836, v52
	v_fma_f16 v47, v24, 0xbacd, -v47
	v_fmac_f16_e32 v52, 0xb836, v21
	v_mul_f16_e32 v57, 0x3a62, v60
	v_mul_f16_e32 v59, 0x3964, v60
	v_add_f16_e32 v53, v53, v58
	v_add_f16_e32 v44, v47, v44
	;; [unrolled: 1-line block ×3, first 2 shown]
	v_fmamk_f16 v52, v24, 0xb8d2, v57
	v_mul_f16_e32 v58, 0xb8d2, v22
	v_mul_f16_e32 v22, 0x39e9, v22
	v_fma_f16 v57, v24, 0xb8d2, -v57
	v_add_f16_e32 v48, v61, v48
	v_add_f16_e32 v49, v52, v49
	v_fmamk_f16 v52, v24, 0x39e9, v59
	v_fmamk_f16 v60, v21, 0xba62, v58
	v_fmac_f16_e32 v58, 0x3a62, v21
	v_add_f16_e32 v46, v57, v46
	v_fma_f16 v24, v24, 0x39e9, -v59
	v_add_f16_e32 v52, v52, v55
	v_sub_f16_e32 v55, v18, v20
	v_add_f16_e32 v18, v18, v20
	v_fmamk_f16 v20, v21, 0xb964, v22
	v_fmac_f16_e32 v22, 0x3964, v21
	v_add_f16_e32 v25, v58, v25
	v_add_f16_e32 v57, v17, v19
	v_mul_f16_e32 v58, 0xbbb2, v55
	v_sub_f16_e32 v17, v17, v19
	v_add_f16_e32 v19, v20, v56
	v_mul_f16_e32 v20, 0xb461, v18
	v_add_f16_e32 v22, v22, v26
	v_mul_f16_e32 v26, 0x3836, v55
	v_fmamk_f16 v21, v57, 0xb461, v58
	v_add_f16_e32 v24, v24, v28
	v_fmamk_f16 v28, v17, 0x3bb2, v20
	v_fmac_f16_e32 v20, 0xbbb2, v17
	v_fmamk_f16 v56, v57, 0xbacd, v26
	v_add_f16_e32 v21, v21, v33
	v_fma_f16 v33, v57, 0xb461, -v58
	v_add_f16_e32 v28, v28, v29
	v_mul_f16_e32 v29, 0xbacd, v18
	v_add_f16_e32 v20, v20, v23
	v_add_f16_e32 v23, v56, v30
	v_fma_f16 v26, v57, 0xbacd, -v26
	v_mul_f16_e32 v56, 0x39e9, v18
	v_add_f16_e32 v27, v33, v27
	v_mul_f16_e32 v30, 0x3964, v55
	v_fmamk_f16 v33, v17, 0xb836, v29
	v_add_f16_e32 v26, v26, v31
	v_fmamk_f16 v31, v17, 0xb964, v56
	v_fmac_f16_e32 v29, 0x3836, v17
	v_fmamk_f16 v58, v57, 0x39e9, v30
	v_add_f16_e32 v33, v33, v38
	v_mul_f16_e32 v38, 0xbb29, v55
	v_fma_f16 v30, v57, 0x39e9, -v30
	v_fmac_f16_e32 v56, 0x3964, v17
	v_add_f16_e32 v31, v31, v37
	v_mul_f16_e32 v37, 0x3722, v18
	v_add_f16_e32 v29, v29, v32
	v_add_f16_e32 v32, v58, v39
	v_fmamk_f16 v39, v57, 0x3722, v38
	v_add_f16_e32 v30, v30, v34
	v_add_f16_e32 v34, v56, v35
	v_mul_f16_e32 v35, 0xb1e1, v55
	v_fmamk_f16 v56, v17, 0x3b29, v37
	v_add_f16_e32 v39, v39, v43
	v_fma_f16 v38, v57, 0x3722, -v38
	v_fmac_f16_e32 v37, 0xbb29, v17
	v_fmamk_f16 v43, v57, 0xbbdd, v35
	v_add_f16_e32 v50, v56, v50
	v_mul_f16_e32 v56, 0xbbdd, v18
	v_add_f16_e32 v38, v38, v40
	v_add_f16_e32 v37, v37, v41
	;; [unrolled: 1-line block ×3, first 2 shown]
	v_mul_f16_e32 v41, 0x3bf7, v55
	v_fmamk_f16 v43, v17, 0x31e1, v56
	v_fma_f16 v35, v57, 0xbbdd, -v35
	v_fmac_f16_e32 v56, 0xb1e1, v17
	v_mul_f16_e32 v45, 0x2de8, v18
	v_fmamk_f16 v58, v57, 0x2de8, v41
	v_fma_f16 v41, v57, 0x2de8, -v41
	v_add_f16_e32 v35, v35, v36
	v_add_f16_e32 v36, v56, v42
	v_fmamk_f16 v42, v17, 0xbbf7, v45
	v_fmac_f16_e32 v45, 0x3bf7, v17
	v_add_f16_e32 v43, v43, v51
	v_mul_f16_e32 v51, 0xb5c8, v55
	v_add_f16_e32 v41, v41, v44
	v_add_f16_e32 v42, v42, v53
	;; [unrolled: 1-line block ×3, first 2 shown]
	v_mul_f16_e32 v45, 0xba62, v55
	v_mul_f16_e32 v53, 0x3b76, v18
	v_fmamk_f16 v56, v57, 0x3b76, v51
	v_fma_f16 v51, v57, 0x3b76, -v51
	v_add_f16_e32 v54, v60, v54
	v_fmamk_f16 v55, v57, 0xb8d2, v45
	v_fmamk_f16 v47, v17, 0x35c8, v53
	v_fmac_f16_e32 v53, 0xb5c8, v17
	v_mul_f16_e32 v18, 0xb8d2, v18
	v_add_f16_e32 v46, v51, v46
	v_add_f16_e32 v51, v55, v52
	v_sub_f16_e32 v52, v14, v16
	v_add_f16_e32 v14, v14, v16
	v_add_f16_e32 v47, v47, v54
	;; [unrolled: 1-line block ×3, first 2 shown]
	v_fmamk_f16 v53, v17, 0x3a62, v18
	v_fma_f16 v16, v57, 0xb8d2, -v45
	v_add_f16_e32 v45, v13, v15
	v_mul_f16_e32 v54, 0xba62, v52
	v_fmac_f16_e32 v18, 0xba62, v17
	v_sub_f16_e32 v13, v13, v15
	v_mul_f16_e32 v15, 0xb8d2, v14
	v_add_f16_e32 v17, v53, v19
	v_fmamk_f16 v19, v45, 0xb8d2, v54
	v_add_f16_e32 v16, v16, v24
	v_add_f16_e32 v18, v18, v22
	v_fmamk_f16 v22, v13, 0x3a62, v15
	v_mul_f16_e32 v24, 0x3bb2, v52
	v_fmac_f16_e32 v15, 0xba62, v13
	v_add_f16_e32 v19, v19, v21
	v_fma_f16 v21, v45, 0xb8d2, -v54
	v_add_f16_e32 v22, v22, v28
	v_fmamk_f16 v28, v45, 0xb461, v24
	v_mul_f16_e32 v53, 0xb461, v14
	v_add_f16_e32 v15, v15, v20
	v_mul_f16_e32 v20, 0xb5c8, v52
	v_add_f16_e32 v21, v21, v27
	v_add_f16_e32 v23, v28, v23
	v_fmamk_f16 v27, v13, 0xbbb2, v53
	v_fma_f16 v24, v45, 0xb461, -v24
	v_fmac_f16_e32 v53, 0x3bb2, v13
	v_fmamk_f16 v28, v45, 0x3b76, v20
	v_mul_f16_e32 v54, 0x3b76, v14
	v_add_f16_e32 v27, v27, v33
	v_add_f16_e32 v24, v24, v26
	;; [unrolled: 1-line block ×4, first 2 shown]
	v_fmamk_f16 v29, v13, 0x35c8, v54
	v_mul_f16_e32 v32, 0xb836, v52
	v_fma_f16 v20, v45, 0x3b76, -v20
	v_fmac_f16_e32 v54, 0xb5c8, v13
	v_mul_f16_e32 v33, 0xbacd, v14
	v_add_f16_e32 v29, v29, v31
	v_fmamk_f16 v31, v45, 0xbacd, v32
	v_add_f16_e32 v20, v20, v30
	v_add_f16_e32 v30, v54, v34
	v_fmamk_f16 v34, v13, 0x3836, v33
	v_mul_f16_e32 v53, 0x3bf7, v52
	v_fmac_f16_e32 v33, 0xb836, v13
	v_add_f16_e32 v31, v31, v39
	v_fma_f16 v32, v45, 0xbacd, -v32
	v_add_f16_e32 v34, v34, v50
	v_fmamk_f16 v39, v45, 0x2de8, v53
	v_mul_f16_e32 v50, 0x2de8, v14
	v_add_f16_e32 v33, v33, v37
	v_mul_f16_e32 v37, 0xb964, v52
	v_add_f16_e32 v48, v58, v48
	v_add_f16_e32 v32, v32, v38
	;; [unrolled: 1-line block ×3, first 2 shown]
	v_fmamk_f16 v39, v13, 0xbbf7, v50
	v_fma_f16 v40, v45, 0x2de8, -v53
	v_fmamk_f16 v53, v45, 0x39e9, v37
	v_mul_f16_e32 v54, 0x39e9, v14
	v_fmac_f16_e32 v50, 0x3bf7, v13
	v_add_f16_e32 v39, v39, v43
	v_add_f16_e32 v35, v40, v35
	v_add_f16_e32 v40, v53, v48
	v_fmamk_f16 v43, v13, 0x3964, v54
	v_mul_f16_e32 v48, 0xb1e1, v52
	v_add_f16_e32 v36, v50, v36
	v_fma_f16 v37, v45, 0x39e9, -v37
	v_fmac_f16_e32 v54, 0xb964, v13
	v_mul_f16_e32 v50, 0xbbdd, v14
	v_add_f16_e32 v42, v43, v42
	v_fmamk_f16 v43, v45, 0xbbdd, v48
	v_fma_f16 v48, v45, 0xbbdd, -v48
	v_add_f16_e32 v49, v56, v49
	v_add_f16_e32 v37, v37, v41
	v_add_f16_e32 v41, v54, v44
	v_fmamk_f16 v44, v13, 0x31e1, v50
	v_mul_f16_e32 v52, 0x3b29, v52
	v_fmac_f16_e32 v50, 0xb1e1, v13
	v_mul_f16_e32 v14, 0x3722, v14
	v_add_f16_e32 v46, v48, v46
	v_sub_f16_e32 v48, v10, v12
	v_add_f16_e32 v10, v10, v12
	v_add_f16_e32 v43, v43, v49
	;; [unrolled: 1-line block ×3, first 2 shown]
	v_fmamk_f16 v47, v45, 0x3722, v52
	v_add_f16_e32 v25, v50, v25
	v_fmamk_f16 v49, v13, 0xbb29, v14
	v_fma_f16 v45, v45, 0x3722, -v52
	v_add_f16_e32 v12, v8, v11
	v_mul_f16_e32 v50, 0xb836, v48
	v_fmac_f16_e32 v14, 0x3b29, v13
	v_sub_f16_e32 v8, v8, v11
	v_mul_f16_e32 v11, 0xbacd, v10
	v_add_f16_e32 v13, v49, v17
	v_fmamk_f16 v17, v12, 0xbacd, v50
	v_add_f16_e32 v16, v45, v16
	v_add_f16_e32 v14, v14, v18
	v_fmamk_f16 v18, v8, 0x3836, v11
	v_mul_f16_e32 v45, 0x3b29, v48
	v_fmac_f16_e32 v11, 0xb836, v8
	v_add_f16_e32 v17, v17, v19
	v_fma_f16 v19, v12, 0xbacd, -v50
	v_add_f16_e32 v18, v18, v22
	v_fmamk_f16 v22, v12, 0x3722, v45
	v_mul_f16_e32 v49, 0x3722, v10
	v_add_f16_e32 v11, v11, v15
	v_mul_f16_e32 v15, 0xbbf7, v48
	v_add_f16_e32 v19, v19, v21
	v_add_f16_e32 v21, v22, v23
	v_fmamk_f16 v22, v8, 0xbb29, v49
	v_fma_f16 v23, v12, 0x3722, -v45
	v_fmac_f16_e32 v49, 0x3b29, v8
	v_fmamk_f16 v45, v12, 0x2de8, v15
	v_mul_f16_e32 v50, 0x2de8, v10
	v_add_f16_e32 v22, v22, v27
	v_add_f16_e32 v23, v23, v24
	;; [unrolled: 1-line block ×4, first 2 shown]
	v_fmamk_f16 v27, v8, 0x3bf7, v50
	v_mul_f16_e32 v28, 0x3a62, v48
	v_fma_f16 v15, v12, 0x2de8, -v15
	v_fmac_f16_e32 v50, 0xbbf7, v8
	v_mul_f16_e32 v45, 0xb8d2, v10
	v_add_f16_e32 v27, v27, v29
	v_fmamk_f16 v29, v12, 0xb8d2, v28
	v_add_f16_e32 v15, v15, v20
	v_add_f16_e32 v20, v50, v30
	v_fmamk_f16 v30, v8, 0xba62, v45
	v_mul_f16_e32 v49, 0xb5c8, v48
	v_add_f16_e32 v29, v29, v31
	v_fma_f16 v28, v12, 0xb8d2, -v28
	v_fmac_f16_e32 v45, 0x3a62, v8
	v_add_f16_e32 v30, v30, v34
	v_fmamk_f16 v31, v12, 0x3b76, v49
	v_mul_f16_e32 v34, 0x3b76, v10
	v_add_f16_e32 v28, v28, v32
	v_add_f16_e32 v32, v45, v33
	v_mul_f16_e32 v33, 0xb1e1, v48
	v_add_f16_e32 v31, v31, v38
	v_fmamk_f16 v38, v8, 0x35c8, v34
	v_fma_f16 v45, v12, 0x3b76, -v49
	v_mul_f16_e32 v50, 0xbbdd, v10
	v_fmac_f16_e32 v34, 0xb5c8, v8
	v_fmamk_f16 v49, v12, 0xbbdd, v33
	v_add_f16_e32 v38, v38, v39
	v_add_f16_e32 v35, v45, v35
	v_fmamk_f16 v39, v8, 0x31e1, v50
	v_fma_f16 v33, v12, 0xbbdd, -v33
	v_fmac_f16_e32 v50, 0xb1e1, v8
	v_mul_f16_e32 v45, 0x39e9, v10
	v_add_f16_e32 v34, v34, v36
	v_add_f16_e32 v36, v49, v40
	v_mul_f16_e32 v40, 0x3964, v48
	v_add_f16_e32 v33, v33, v37
	v_add_f16_e32 v37, v50, v41
	v_fmamk_f16 v41, v8, 0xb964, v45
	v_add_f16_e32 v39, v39, v42
	v_fmamk_f16 v42, v12, 0x39e9, v40
	v_fma_f16 v40, v12, 0x39e9, -v40
	v_mul_f16_e32 v48, 0xbbb2, v48
	v_add_f16_e32 v41, v41, v44
	v_sub_f16_e32 v44, v6, v7
	v_fmac_f16_e32 v45, 0x3964, v8
	v_mul_f16_e32 v10, 0xb461, v10
	v_add_f16_e32 v40, v40, v46
	v_add_f16_e32 v46, v4, v5
	;; [unrolled: 1-line block ×3, first 2 shown]
	v_mul_f16_e32 v7, 0xb1e1, v44
	v_add_f16_e32 v42, v42, v43
	v_fmamk_f16 v43, v12, 0xb461, v48
	v_add_f16_e32 v25, v45, v25
	v_fmamk_f16 v45, v8, 0x3bb2, v10
	v_fma_f16 v12, v12, 0xb461, -v48
	v_fmac_f16_e32 v10, 0xbbb2, v8
	v_sub_f16_e32 v8, v4, v5
	v_mul_f16_e32 v4, 0xbbdd, v6
	v_fmamk_f16 v5, v46, 0xbbdd, v7
	v_add_f16_e32 v12, v12, v16
	v_add_f16_e32 v10, v10, v14
	v_fma_f16 v7, v46, 0xbbdd, -v7
	v_fmamk_f16 v14, v8, 0x31e1, v4
	v_add_f16_e32 v16, v5, v17
	v_mul_f16_e32 v5, 0x35c8, v44
	v_fmac_f16_e32 v4, 0xb1e1, v8
	v_mul_f16_e32 v17, 0x3b76, v6
	v_add_f16_e32 v13, v45, v13
	v_add_f16_e32 v14, v14, v18
	v_fmamk_f16 v18, v46, 0x3b76, v5
	v_add_f16_e32 v19, v7, v19
	v_add_f16_e32 v45, v4, v11
	v_mul_f16_e32 v4, 0xb836, v44
	v_fmamk_f16 v7, v8, 0xb5c8, v17
	v_fma_f16 v5, v46, 0x3b76, -v5
	v_fmac_f16_e32 v17, 0x35c8, v8
	v_add_f16_e32 v18, v18, v21
	v_fmamk_f16 v11, v46, 0xbacd, v4
	v_add_f16_e32 v21, v7, v22
	v_mul_f16_e32 v7, 0xbacd, v6
	v_add_f16_e32 v22, v5, v23
	v_add_f16_e32 v17, v17, v24
	v_mul_f16_e32 v5, 0x3964, v44
	v_fma_f16 v4, v46, 0xbacd, -v4
	v_mul_f16_e32 v24, 0x39e9, v6
	v_add_f16_e32 v23, v11, v26
	v_fmamk_f16 v11, v8, 0x3836, v7
	v_fmac_f16_e32 v7, 0xb836, v8
	v_fmamk_f16 v26, v46, 0x39e9, v5
	v_add_f16_e32 v15, v4, v15
	v_fmamk_f16 v4, v8, 0xb964, v24
	v_fma_f16 v5, v46, 0x39e9, -v5
	v_add_f16_e32 v20, v7, v20
	v_mul_f16_e32 v7, 0xba62, v44
	v_add_f16_e32 v26, v26, v29
	v_add_f16_e32 v29, v4, v30
	v_mul_f16_e32 v4, 0xb8d2, v6
	v_add_f16_e32 v27, v11, v27
	v_fmac_f16_e32 v24, 0x3964, v8
	v_fmamk_f16 v11, v46, 0xb8d2, v7
	v_add_f16_e32 v28, v5, v28
	v_mul_f16_e32 v5, 0x3b29, v44
	v_fmamk_f16 v30, v8, 0x3a62, v4
	v_fmac_f16_e32 v4, 0xba62, v8
	v_add_f16_e32 v24, v24, v32
	v_add_f16_e32 v31, v11, v31
	v_fma_f16 v7, v46, 0xb8d2, -v7
	v_fmamk_f16 v11, v46, 0x3722, v5
	v_mul_f16_e32 v32, 0x3722, v6
	v_add_f16_e32 v34, v4, v34
	v_mul_f16_e32 v4, 0xbbb2, v44
	v_add_f16_e32 v35, v7, v35
	v_add_f16_e32 v36, v11, v36
	v_fmamk_f16 v7, v8, 0xbb29, v32
	v_mul_f16_e32 v11, 0xb461, v6
	v_add_f16_e32 v30, v30, v38
	v_fma_f16 v5, v46, 0x3722, -v5
	v_fmac_f16_e32 v32, 0x3b29, v8
	v_fmamk_f16 v38, v46, 0xb461, v4
	v_add_f16_e32 v39, v7, v39
	v_fmamk_f16 v7, v8, 0x3bb2, v11
	v_add_f16_e32 v33, v5, v33
	v_add_f16_e32 v32, v32, v37
	v_add_f16_e32 v37, v38, v42
	v_fma_f16 v38, v46, 0xb461, -v4
	v_mad_u64_u32 v[4:5], null, s0, v1, 0
	v_add_f16_e32 v41, v7, v41
	v_mul_u32_u24_e32 v7, 0x227, v0
	v_add_f16_e32 v47, v47, v51
	v_add_f16_e32 v38, v38, v40
	v_mul_f16_e32 v40, 0x3bf7, v44
	v_fmac_f16_e32 v11, 0xbbb2, v8
	v_mov_b32_e32 v0, v5
	v_lshrrev_b32_e32 v5, 16, v7
	v_add_f16_e32 v43, v43, v47
	v_fmamk_f16 v7, v46, 0x2de8, v40
	v_mul_f16_e32 v6, 0x2de8, v6
	v_mad_u64_u32 v[0:1], null, s1, v1, v[0:1]
	v_mul_lo_u16 v1, 0x121, v5
	v_fma_f16 v5, v46, 0x2de8, -v40
	v_add_f16_e32 v40, v7, v43
	s_lshl_b64 s[0:1], s[4:5], 2
	v_add_f16_e32 v25, v11, v25
	v_add_nc_u32_sdwa v1, v3, v1 dst_sel:DWORD dst_unused:UNUSED_PAD src0_sel:BYTE_0 src1_sel:WORD_0
	v_add_f16_e32 v43, v5, v12
	v_mov_b32_e32 v5, v0
	v_fmamk_f16 v11, v8, 0xbbf7, v6
	v_fmac_f16_e32 v6, 0x3bf7, v8
	v_mul_lo_u32 v1, v1, s2
	s_add_u32 s3, s18, s0
	s_addc_u32 s4, s19, s1
	s_lshl_b64 s[0:1], s[6:7], 2
	v_lshlrev_b64 v[3:4], 2, v[4:5]
	s_add_u32 s3, s0, s3
	s_mul_i32 s0, s2, 17
	v_add_f16_e32 v44, v6, v10
	v_lshlrev_b64 v[5:6], 2, v[1:2]
	v_add_nc_u32_e32 v1, s0, v1
	s_addc_u32 s1, s1, s4
	v_add_co_u32 v46, vcc_lo, s3, v3
	v_add_co_ci_u32_e32 v47, vcc_lo, s1, v4, vcc_lo
	v_lshlrev_b64 v[3:4], 2, v[1:2]
	v_add_nc_u32_e32 v1, s0, v1
	v_add_co_u32 v5, vcc_lo, v46, v5
	v_add_co_ci_u32_e32 v6, vcc_lo, v47, v6, vcc_lo
	v_lshlrev_b64 v[7:8], 2, v[1:2]
	v_add_nc_u32_e32 v1, s0, v1
	v_add_f16_e32 v42, v11, v13
	v_add_co_u32 v3, vcc_lo, v46, v3
	v_add_co_ci_u32_e32 v4, vcc_lo, v47, v4, vcc_lo
	v_lshlrev_b64 v[10:11], 2, v[1:2]
	v_add_nc_u32_e32 v1, s0, v1
	v_add_co_u32 v7, vcc_lo, v46, v7
	v_add_co_ci_u32_e32 v8, vcc_lo, v47, v8, vcc_lo
	v_lshlrev_b64 v[12:13], 2, v[1:2]
	v_add_nc_u32_e32 v1, s0, v1
	v_pack_b32_f16 v0, v16, v14
	v_add_co_u32 v10, vcc_lo, v46, v10
	v_pack_b32_f16 v14, v18, v21
	v_add_co_ci_u32_e32 v11, vcc_lo, v47, v11, vcc_lo
	v_pack_b32_f16 v16, v23, v27
	global_store_dword v[5:6], v9, off
	global_store_dword v[3:4], v0, off
	;; [unrolled: 1-line block ×4, first 2 shown]
	v_lshlrev_b64 v[3:4], 2, v[1:2]
	v_add_nc_u32_e32 v1, s0, v1
	v_add_co_u32 v5, vcc_lo, v46, v12
	v_add_co_ci_u32_e32 v6, vcc_lo, v47, v13, vcc_lo
	v_lshlrev_b64 v[7:8], 2, v[1:2]
	v_add_nc_u32_e32 v1, s0, v1
	v_add_co_u32 v3, vcc_lo, v46, v3
	v_add_co_ci_u32_e32 v4, vcc_lo, v47, v4, vcc_lo
	v_lshlrev_b64 v[9:10], 2, v[1:2]
	v_add_nc_u32_e32 v1, s0, v1
	v_add_co_u32 v7, vcc_lo, v46, v7
	v_pack_b32_f16 v0, v26, v29
	v_add_co_ci_u32_e32 v8, vcc_lo, v47, v8, vcc_lo
	v_lshlrev_b64 v[11:12], 2, v[1:2]
	v_add_nc_u32_e32 v1, s0, v1
	v_pack_b32_f16 v13, v31, v30
	v_add_co_u32 v9, vcc_lo, v46, v9
	v_pack_b32_f16 v14, v36, v39
	v_add_co_ci_u32_e32 v10, vcc_lo, v47, v10, vcc_lo
	v_pack_b32_f16 v16, v37, v41
	global_store_dword v[5:6], v0, off
	global_store_dword v[3:4], v13, off
	global_store_dword v[7:8], v14, off
	global_store_dword v[9:10], v16, off
	v_lshlrev_b64 v[3:4], 2, v[1:2]
	v_add_nc_u32_e32 v1, s0, v1
	v_add_co_u32 v5, vcc_lo, v46, v11
	v_add_co_ci_u32_e32 v6, vcc_lo, v47, v12, vcc_lo
	v_lshlrev_b64 v[7:8], 2, v[1:2]
	v_add_nc_u32_e32 v1, s0, v1
	v_add_co_u32 v3, vcc_lo, v46, v3
	v_add_co_ci_u32_e32 v4, vcc_lo, v47, v4, vcc_lo
	v_lshlrev_b64 v[9:10], 2, v[1:2]
	v_add_nc_u32_e32 v1, s0, v1
	v_add_co_u32 v7, vcc_lo, v46, v7
	v_pack_b32_f16 v0, v40, v42
	v_add_co_ci_u32_e32 v8, vcc_lo, v47, v8, vcc_lo
	v_lshlrev_b64 v[11:12], 2, v[1:2]
	v_add_nc_u32_e32 v1, s0, v1
	v_pack_b32_f16 v13, v43, v44
	v_add_co_u32 v9, vcc_lo, v46, v9
	v_pack_b32_f16 v14, v38, v25
	v_add_co_ci_u32_e32 v10, vcc_lo, v47, v10, vcc_lo
	v_pack_b32_f16 v16, v33, v32
	global_store_dword v[5:6], v0, off
	global_store_dword v[3:4], v13, off
	;; [unrolled: 1-line block ×4, first 2 shown]
	v_lshlrev_b64 v[3:4], 2, v[1:2]
	v_add_nc_u32_e32 v1, s0, v1
	v_add_co_u32 v5, vcc_lo, v46, v11
	v_add_co_ci_u32_e32 v6, vcc_lo, v47, v12, vcc_lo
	v_lshlrev_b64 v[7:8], 2, v[1:2]
	v_add_nc_u32_e32 v1, s0, v1
	v_add_co_u32 v3, vcc_lo, v46, v3
	v_add_co_ci_u32_e32 v4, vcc_lo, v47, v4, vcc_lo
	;; [unrolled: 4-line block ×3, first 2 shown]
	v_lshlrev_b64 v[0:1], 2, v[1:2]
	v_add_co_u32 v9, vcc_lo, v46, v9
	v_pack_b32_f16 v11, v35, v34
	v_pack_b32_f16 v12, v28, v24
	v_add_co_ci_u32_e32 v10, vcc_lo, v47, v10, vcc_lo
	v_pack_b32_f16 v13, v15, v20
	v_add_co_u32 v0, vcc_lo, v46, v0
	v_pack_b32_f16 v2, v22, v17
	v_add_co_ci_u32_e32 v1, vcc_lo, v47, v1, vcc_lo
	v_pack_b32_f16 v14, v19, v45
	global_store_dword v[5:6], v11, off
	global_store_dword v[3:4], v12, off
	;; [unrolled: 1-line block ×5, first 2 shown]
	s_endpgm
	.section	.rodata,"a",@progbits
	.p2align	6, 0x0
	.amdhsa_kernel fft_rtc_back_len289_factors_17_17_wgs_119_tpt_17_half_op_CI_CI_sbrc_aligned_dirReg
		.amdhsa_group_segment_fixed_size 0
		.amdhsa_private_segment_fixed_size 0
		.amdhsa_kernarg_size 104
		.amdhsa_user_sgpr_count 6
		.amdhsa_user_sgpr_private_segment_buffer 1
		.amdhsa_user_sgpr_dispatch_ptr 0
		.amdhsa_user_sgpr_queue_ptr 0
		.amdhsa_user_sgpr_kernarg_segment_ptr 1
		.amdhsa_user_sgpr_dispatch_id 0
		.amdhsa_user_sgpr_flat_scratch_init 0
		.amdhsa_user_sgpr_private_segment_size 0
		.amdhsa_wavefront_size32 1
		.amdhsa_uses_dynamic_stack 0
		.amdhsa_system_sgpr_private_segment_wavefront_offset 0
		.amdhsa_system_sgpr_workgroup_id_x 1
		.amdhsa_system_sgpr_workgroup_id_y 0
		.amdhsa_system_sgpr_workgroup_id_z 0
		.amdhsa_system_sgpr_workgroup_info 0
		.amdhsa_system_vgpr_workitem_id 0
		.amdhsa_next_free_vgpr 76
		.amdhsa_next_free_sgpr 44
		.amdhsa_reserve_vcc 1
		.amdhsa_reserve_flat_scratch 0
		.amdhsa_float_round_mode_32 0
		.amdhsa_float_round_mode_16_64 0
		.amdhsa_float_denorm_mode_32 3
		.amdhsa_float_denorm_mode_16_64 3
		.amdhsa_dx10_clamp 1
		.amdhsa_ieee_mode 1
		.amdhsa_fp16_overflow 0
		.amdhsa_workgroup_processor_mode 1
		.amdhsa_memory_ordered 1
		.amdhsa_forward_progress 0
		.amdhsa_shared_vgpr_count 0
		.amdhsa_exception_fp_ieee_invalid_op 0
		.amdhsa_exception_fp_denorm_src 0
		.amdhsa_exception_fp_ieee_div_zero 0
		.amdhsa_exception_fp_ieee_overflow 0
		.amdhsa_exception_fp_ieee_underflow 0
		.amdhsa_exception_fp_ieee_inexact 0
		.amdhsa_exception_int_div_zero 0
	.end_amdhsa_kernel
	.text
.Lfunc_end0:
	.size	fft_rtc_back_len289_factors_17_17_wgs_119_tpt_17_half_op_CI_CI_sbrc_aligned_dirReg, .Lfunc_end0-fft_rtc_back_len289_factors_17_17_wgs_119_tpt_17_half_op_CI_CI_sbrc_aligned_dirReg
                                        ; -- End function
	.section	.AMDGPU.csdata,"",@progbits
; Kernel info:
; codeLenInByte = 15364
; NumSgprs: 46
; NumVgprs: 76
; ScratchSize: 0
; MemoryBound: 0
; FloatMode: 240
; IeeeMode: 1
; LDSByteSize: 0 bytes/workgroup (compile time only)
; SGPRBlocks: 5
; VGPRBlocks: 9
; NumSGPRsForWavesPerEU: 46
; NumVGPRsForWavesPerEU: 76
; Occupancy: 12
; WaveLimiterHint : 1
; COMPUTE_PGM_RSRC2:SCRATCH_EN: 0
; COMPUTE_PGM_RSRC2:USER_SGPR: 6
; COMPUTE_PGM_RSRC2:TRAP_HANDLER: 0
; COMPUTE_PGM_RSRC2:TGID_X_EN: 1
; COMPUTE_PGM_RSRC2:TGID_Y_EN: 0
; COMPUTE_PGM_RSRC2:TGID_Z_EN: 0
; COMPUTE_PGM_RSRC2:TIDIG_COMP_CNT: 0
	.text
	.p2alignl 6, 3214868480
	.fill 48, 4, 3214868480
	.type	__hip_cuid_42052c70ddebcd6d,@object ; @__hip_cuid_42052c70ddebcd6d
	.section	.bss,"aw",@nobits
	.globl	__hip_cuid_42052c70ddebcd6d
__hip_cuid_42052c70ddebcd6d:
	.byte	0                               ; 0x0
	.size	__hip_cuid_42052c70ddebcd6d, 1

	.ident	"AMD clang version 19.0.0git (https://github.com/RadeonOpenCompute/llvm-project roc-6.4.0 25133 c7fe45cf4b819c5991fe208aaa96edf142730f1d)"
	.section	".note.GNU-stack","",@progbits
	.addrsig
	.addrsig_sym __hip_cuid_42052c70ddebcd6d
	.amdgpu_metadata
---
amdhsa.kernels:
  - .args:
      - .actual_access:  read_only
        .address_space:  global
        .offset:         0
        .size:           8
        .value_kind:     global_buffer
      - .offset:         8
        .size:           8
        .value_kind:     by_value
      - .actual_access:  read_only
        .address_space:  global
        .offset:         16
        .size:           8
        .value_kind:     global_buffer
      - .actual_access:  read_only
        .address_space:  global
        .offset:         24
        .size:           8
        .value_kind:     global_buffer
      - .actual_access:  read_only
        .address_space:  global
        .offset:         32
        .size:           8
        .value_kind:     global_buffer
      - .offset:         40
        .size:           8
        .value_kind:     by_value
      - .actual_access:  read_only
        .address_space:  global
        .offset:         48
        .size:           8
        .value_kind:     global_buffer
      - .actual_access:  read_only
        .address_space:  global
        .offset:         56
        .size:           8
        .value_kind:     global_buffer
      - .offset:         64
        .size:           4
        .value_kind:     by_value
      - .actual_access:  read_only
        .address_space:  global
        .offset:         72
        .size:           8
        .value_kind:     global_buffer
      - .actual_access:  read_only
        .address_space:  global
        .offset:         80
        .size:           8
        .value_kind:     global_buffer
      - .actual_access:  read_only
        .address_space:  global
        .offset:         88
        .size:           8
        .value_kind:     global_buffer
      - .actual_access:  write_only
        .address_space:  global
        .offset:         96
        .size:           8
        .value_kind:     global_buffer
    .group_segment_fixed_size: 0
    .kernarg_segment_align: 8
    .kernarg_segment_size: 104
    .language:       OpenCL C
    .language_version:
      - 2
      - 0
    .max_flat_workgroup_size: 119
    .name:           fft_rtc_back_len289_factors_17_17_wgs_119_tpt_17_half_op_CI_CI_sbrc_aligned_dirReg
    .private_segment_fixed_size: 0
    .sgpr_count:     46
    .sgpr_spill_count: 0
    .symbol:         fft_rtc_back_len289_factors_17_17_wgs_119_tpt_17_half_op_CI_CI_sbrc_aligned_dirReg.kd
    .uniform_work_group_size: 1
    .uses_dynamic_stack: false
    .vgpr_count:     76
    .vgpr_spill_count: 0
    .wavefront_size: 32
    .workgroup_processor_mode: 1
amdhsa.target:   amdgcn-amd-amdhsa--gfx1030
amdhsa.version:
  - 1
  - 2
...

	.end_amdgpu_metadata
